;; amdgpu-corpus repo=ROCm/rocFFT kind=compiled arch=gfx906 opt=O3
	.text
	.amdgcn_target "amdgcn-amd-amdhsa--gfx906"
	.amdhsa_code_object_version 6
	.protected	fft_rtc_fwd_len182_factors_13_2_7_wgs_52_tpt_13_dp_op_CI_CI_unitstride_sbrr_R2C_dirReg ; -- Begin function fft_rtc_fwd_len182_factors_13_2_7_wgs_52_tpt_13_dp_op_CI_CI_unitstride_sbrr_R2C_dirReg
	.globl	fft_rtc_fwd_len182_factors_13_2_7_wgs_52_tpt_13_dp_op_CI_CI_unitstride_sbrr_R2C_dirReg
	.p2align	8
	.type	fft_rtc_fwd_len182_factors_13_2_7_wgs_52_tpt_13_dp_op_CI_CI_unitstride_sbrr_R2C_dirReg,@function
fft_rtc_fwd_len182_factors_13_2_7_wgs_52_tpt_13_dp_op_CI_CI_unitstride_sbrr_R2C_dirReg: ; @fft_rtc_fwd_len182_factors_13_2_7_wgs_52_tpt_13_dp_op_CI_CI_unitstride_sbrr_R2C_dirReg
; %bb.0:
	s_load_dwordx4 s[8:11], s[4:5], 0x58
	s_load_dwordx4 s[12:15], s[4:5], 0x0
	;; [unrolled: 1-line block ×3, first 2 shown]
	v_mul_u32_u24_e32 v1, 0x13b2, v0
	v_lshrrev_b32_e32 v7, 16, v1
	v_mov_b32_e32 v3, 0
	s_waitcnt lgkmcnt(0)
	v_cmp_lt_u64_e64 s[0:1], s[14:15], 2
	v_mov_b32_e32 v1, 0
	v_lshl_add_u32 v5, s6, 2, v7
	v_mov_b32_e32 v6, v3
	s_and_b64 vcc, exec, s[0:1]
	v_mov_b32_e32 v2, 0
	s_cbranch_vccnz .LBB0_8
; %bb.1:
	s_load_dwordx2 s[0:1], s[4:5], 0x10
	s_add_u32 s2, s18, 8
	s_addc_u32 s3, s19, 0
	s_add_u32 s6, s16, 8
	v_mov_b32_e32 v1, 0
	s_addc_u32 s7, s17, 0
	v_mov_b32_e32 v2, 0
	s_waitcnt lgkmcnt(0)
	s_add_u32 s20, s0, 8
	v_mov_b32_e32 v85, v2
	s_addc_u32 s21, s1, 0
	s_mov_b64 s[22:23], 1
	v_mov_b32_e32 v84, v1
.LBB0_2:                                ; =>This Inner Loop Header: Depth=1
	s_load_dwordx2 s[24:25], s[20:21], 0x0
                                        ; implicit-def: $vgpr88_vgpr89
	s_waitcnt lgkmcnt(0)
	v_or_b32_e32 v4, s25, v6
	v_cmp_ne_u64_e32 vcc, 0, v[3:4]
	s_and_saveexec_b64 s[0:1], vcc
	s_xor_b64 s[26:27], exec, s[0:1]
	s_cbranch_execz .LBB0_4
; %bb.3:                                ;   in Loop: Header=BB0_2 Depth=1
	v_cvt_f32_u32_e32 v4, s24
	v_cvt_f32_u32_e32 v8, s25
	s_sub_u32 s0, 0, s24
	s_subb_u32 s1, 0, s25
	v_mac_f32_e32 v4, 0x4f800000, v8
	v_rcp_f32_e32 v4, v4
	v_mul_f32_e32 v4, 0x5f7ffffc, v4
	v_mul_f32_e32 v8, 0x2f800000, v4
	v_trunc_f32_e32 v8, v8
	v_mac_f32_e32 v4, 0xcf800000, v8
	v_cvt_u32_f32_e32 v8, v8
	v_cvt_u32_f32_e32 v4, v4
	v_mul_lo_u32 v9, s0, v8
	v_mul_hi_u32 v10, s0, v4
	v_mul_lo_u32 v12, s1, v4
	v_mul_lo_u32 v11, s0, v4
	v_add_u32_e32 v9, v10, v9
	v_add_u32_e32 v9, v9, v12
	v_mul_hi_u32 v10, v4, v11
	v_mul_lo_u32 v12, v4, v9
	v_mul_hi_u32 v14, v4, v9
	v_mul_hi_u32 v13, v8, v11
	v_mul_lo_u32 v11, v8, v11
	v_mul_hi_u32 v15, v8, v9
	v_add_co_u32_e32 v10, vcc, v10, v12
	v_addc_co_u32_e32 v12, vcc, 0, v14, vcc
	v_mul_lo_u32 v9, v8, v9
	v_add_co_u32_e32 v10, vcc, v10, v11
	v_addc_co_u32_e32 v10, vcc, v12, v13, vcc
	v_addc_co_u32_e32 v11, vcc, 0, v15, vcc
	v_add_co_u32_e32 v9, vcc, v10, v9
	v_addc_co_u32_e32 v10, vcc, 0, v11, vcc
	v_add_co_u32_e32 v4, vcc, v4, v9
	v_addc_co_u32_e32 v8, vcc, v8, v10, vcc
	v_mul_lo_u32 v9, s0, v8
	v_mul_hi_u32 v10, s0, v4
	v_mul_lo_u32 v11, s1, v4
	v_mul_lo_u32 v12, s0, v4
	v_add_u32_e32 v9, v10, v9
	v_add_u32_e32 v9, v9, v11
	v_mul_lo_u32 v13, v4, v9
	v_mul_hi_u32 v14, v4, v12
	v_mul_hi_u32 v15, v4, v9
	;; [unrolled: 1-line block ×3, first 2 shown]
	v_mul_lo_u32 v12, v8, v12
	v_mul_hi_u32 v10, v8, v9
	v_add_co_u32_e32 v13, vcc, v14, v13
	v_addc_co_u32_e32 v14, vcc, 0, v15, vcc
	v_mul_lo_u32 v9, v8, v9
	v_add_co_u32_e32 v12, vcc, v13, v12
	v_addc_co_u32_e32 v11, vcc, v14, v11, vcc
	v_addc_co_u32_e32 v10, vcc, 0, v10, vcc
	v_add_co_u32_e32 v9, vcc, v11, v9
	v_addc_co_u32_e32 v10, vcc, 0, v10, vcc
	v_add_co_u32_e32 v4, vcc, v4, v9
	v_addc_co_u32_e32 v10, vcc, v8, v10, vcc
	v_mad_u64_u32 v[8:9], s[0:1], v5, v10, 0
	v_mul_hi_u32 v11, v5, v4
	v_add_co_u32_e32 v12, vcc, v11, v8
	v_addc_co_u32_e32 v13, vcc, 0, v9, vcc
	v_mad_u64_u32 v[8:9], s[0:1], v6, v4, 0
	v_mad_u64_u32 v[10:11], s[0:1], v6, v10, 0
	v_add_co_u32_e32 v4, vcc, v12, v8
	v_addc_co_u32_e32 v4, vcc, v13, v9, vcc
	v_addc_co_u32_e32 v8, vcc, 0, v11, vcc
	v_add_co_u32_e32 v4, vcc, v4, v10
	v_addc_co_u32_e32 v10, vcc, 0, v8, vcc
	v_mul_lo_u32 v11, s25, v4
	v_mul_lo_u32 v12, s24, v10
	v_mad_u64_u32 v[8:9], s[0:1], s24, v4, 0
	v_add3_u32 v9, v9, v12, v11
	v_sub_u32_e32 v11, v6, v9
	v_mov_b32_e32 v12, s25
	v_sub_co_u32_e32 v8, vcc, v5, v8
	v_subb_co_u32_e64 v11, s[0:1], v11, v12, vcc
	v_subrev_co_u32_e64 v12, s[0:1], s24, v8
	v_subbrev_co_u32_e64 v11, s[0:1], 0, v11, s[0:1]
	v_cmp_le_u32_e64 s[0:1], s25, v11
	v_cndmask_b32_e64 v13, 0, -1, s[0:1]
	v_cmp_le_u32_e64 s[0:1], s24, v12
	v_cndmask_b32_e64 v12, 0, -1, s[0:1]
	v_cmp_eq_u32_e64 s[0:1], s25, v11
	v_cndmask_b32_e64 v11, v13, v12, s[0:1]
	v_add_co_u32_e64 v12, s[0:1], 2, v4
	v_addc_co_u32_e64 v13, s[0:1], 0, v10, s[0:1]
	v_add_co_u32_e64 v14, s[0:1], 1, v4
	v_addc_co_u32_e64 v15, s[0:1], 0, v10, s[0:1]
	v_subb_co_u32_e32 v9, vcc, v6, v9, vcc
	v_cmp_ne_u32_e64 s[0:1], 0, v11
	v_cmp_le_u32_e32 vcc, s25, v9
	v_cndmask_b32_e64 v11, v15, v13, s[0:1]
	v_cndmask_b32_e64 v13, 0, -1, vcc
	v_cmp_le_u32_e32 vcc, s24, v8
	v_cndmask_b32_e64 v8, 0, -1, vcc
	v_cmp_eq_u32_e32 vcc, s25, v9
	v_cndmask_b32_e32 v8, v13, v8, vcc
	v_cmp_ne_u32_e32 vcc, 0, v8
	v_cndmask_b32_e64 v8, v14, v12, s[0:1]
	v_cndmask_b32_e32 v89, v10, v11, vcc
	v_cndmask_b32_e32 v88, v4, v8, vcc
.LBB0_4:                                ;   in Loop: Header=BB0_2 Depth=1
	s_andn2_saveexec_b64 s[0:1], s[26:27]
	s_cbranch_execz .LBB0_6
; %bb.5:                                ;   in Loop: Header=BB0_2 Depth=1
	v_cvt_f32_u32_e32 v4, s24
	s_sub_i32 s26, 0, s24
	v_mov_b32_e32 v89, v3
	v_rcp_iflag_f32_e32 v4, v4
	v_mul_f32_e32 v4, 0x4f7ffffe, v4
	v_cvt_u32_f32_e32 v4, v4
	v_mul_lo_u32 v8, s26, v4
	v_mul_hi_u32 v8, v4, v8
	v_add_u32_e32 v4, v4, v8
	v_mul_hi_u32 v4, v5, v4
	v_mul_lo_u32 v8, v4, s24
	v_add_u32_e32 v9, 1, v4
	v_sub_u32_e32 v8, v5, v8
	v_subrev_u32_e32 v10, s24, v8
	v_cmp_le_u32_e32 vcc, s24, v8
	v_cndmask_b32_e32 v8, v8, v10, vcc
	v_cndmask_b32_e32 v4, v4, v9, vcc
	v_add_u32_e32 v9, 1, v4
	v_cmp_le_u32_e32 vcc, s24, v8
	v_cndmask_b32_e32 v88, v4, v9, vcc
.LBB0_6:                                ;   in Loop: Header=BB0_2 Depth=1
	s_or_b64 exec, exec, s[0:1]
	v_mul_lo_u32 v4, v89, s24
	v_mul_lo_u32 v10, v88, s25
	v_mad_u64_u32 v[8:9], s[0:1], v88, s24, 0
	s_load_dwordx2 s[0:1], s[6:7], 0x0
	s_load_dwordx2 s[24:25], s[2:3], 0x0
	v_add3_u32 v4, v9, v10, v4
	v_sub_co_u32_e32 v5, vcc, v5, v8
	v_subb_co_u32_e32 v4, vcc, v6, v4, vcc
	s_waitcnt lgkmcnt(0)
	v_mul_lo_u32 v6, s0, v4
	v_mul_lo_u32 v8, s1, v5
	v_mad_u64_u32 v[1:2], s[0:1], s0, v5, v[1:2]
	v_mul_lo_u32 v4, s24, v4
	v_mul_lo_u32 v9, s25, v5
	v_mad_u64_u32 v[84:85], s[0:1], s24, v5, v[84:85]
	s_add_u32 s22, s22, 1
	s_addc_u32 s23, s23, 0
	s_add_u32 s2, s2, 8
	v_add3_u32 v85, v9, v85, v4
	s_addc_u32 s3, s3, 0
	v_mov_b32_e32 v4, s14
	s_add_u32 s6, s6, 8
	v_mov_b32_e32 v5, s15
	s_addc_u32 s7, s7, 0
	v_cmp_ge_u64_e32 vcc, s[22:23], v[4:5]
	s_add_u32 s20, s20, 8
	v_add3_u32 v2, v8, v2, v6
	s_addc_u32 s21, s21, 0
	s_cbranch_vccnz .LBB0_9
; %bb.7:                                ;   in Loop: Header=BB0_2 Depth=1
	v_mov_b32_e32 v5, v88
	v_mov_b32_e32 v6, v89
	s_branch .LBB0_2
.LBB0_8:
	v_mov_b32_e32 v85, v2
	v_mov_b32_e32 v89, v6
	;; [unrolled: 1-line block ×4, first 2 shown]
.LBB0_9:
	s_load_dwordx2 s[0:1], s[4:5], 0x28
	s_lshl_b64 s[6:7], s[14:15], 3
	s_add_u32 s2, s18, s6
	s_addc_u32 s3, s19, s7
	v_and_b32_e32 v3, 3, v7
	s_waitcnt lgkmcnt(0)
	v_cmp_gt_u64_e32 vcc, s[0:1], v[88:89]
	v_cmp_le_u64_e64 s[0:1], s[0:1], v[88:89]
                                        ; implicit-def: $vgpr86
	s_and_saveexec_b64 s[4:5], s[0:1]
	s_xor_b64 s[0:1], exec, s[4:5]
; %bb.10:
	s_mov_b32 s4, 0x13b13b14
	v_mul_hi_u32 v1, v0, s4
	v_mul_u32_u24_e32 v1, 13, v1
	v_sub_u32_e32 v86, v0, v1
                                        ; implicit-def: $vgpr0
                                        ; implicit-def: $vgpr1_vgpr2
; %bb.11:
	s_or_saveexec_b64 s[4:5], s[0:1]
	v_mul_u32_u24_e32 v3, 0xb7, v3
	v_lshlrev_b32_e32 v152, 4, v3
	s_xor_b64 exec, exec, s[4:5]
	s_cbranch_execz .LBB0_13
; %bb.12:
	s_add_u32 s0, s16, s6
	s_addc_u32 s1, s17, s7
	s_load_dwordx2 s[0:1], s[0:1], 0x0
	s_mov_b32 s6, 0x13b13b14
	v_mul_hi_u32 v5, v0, s6
	s_waitcnt lgkmcnt(0)
	v_mul_lo_u32 v6, s1, v88
	v_mul_lo_u32 v7, s0, v89
	v_mad_u64_u32 v[3:4], s[0:1], s0, v88, 0
	v_mul_u32_u24_e32 v5, 13, v5
	v_sub_u32_e32 v86, v0, v5
	v_add3_u32 v4, v4, v7, v6
	v_lshlrev_b64 v[3:4], 4, v[3:4]
	v_mov_b32_e32 v0, s9
	v_add_co_u32_e64 v3, s[0:1], s8, v3
	v_addc_co_u32_e64 v4, s[0:1], v0, v4, s[0:1]
	v_lshlrev_b64 v[0:1], 4, v[1:2]
	v_lshlrev_b32_e32 v58, 4, v86
	v_add_co_u32_e64 v0, s[0:1], v3, v0
	v_addc_co_u32_e64 v1, s[0:1], v4, v1, s[0:1]
	v_add_co_u32_e64 v56, s[0:1], v0, v58
	v_addc_co_u32_e64 v57, s[0:1], 0, v1, s[0:1]
	global_load_dwordx4 v[0:3], v[56:57], off
	global_load_dwordx4 v[4:7], v[56:57], off offset:208
	global_load_dwordx4 v[8:11], v[56:57], off offset:416
	;; [unrolled: 1-line block ×13, first 2 shown]
	v_add3_u32 v56, 0, v152, v58
	s_waitcnt vmcnt(13)
	ds_write_b128 v56, v[0:3]
	s_waitcnt vmcnt(12)
	ds_write_b128 v56, v[4:7] offset:208
	s_waitcnt vmcnt(11)
	ds_write_b128 v56, v[8:11] offset:416
	;; [unrolled: 2-line block ×13, first 2 shown]
.LBB0_13:
	s_or_b64 exec, exec, s[4:5]
	v_lshlrev_b32_e32 v150, 4, v86
	v_add_u32_e32 v0, 0, v150
	v_add_u32_e32 v148, 0, v152
	v_add_u32_e32 v151, v0, v152
	s_load_dwordx2 s[4:5], s[2:3], 0x0
	s_waitcnt lgkmcnt(0)
	; wave barrier
	s_waitcnt lgkmcnt(0)
	v_add_u32_e32 v149, v148, v150
	ds_read_b128 v[56:59], v151 offset:224
	ds_read_b128 v[52:55], v149
	ds_read_b128 v[0:3], v151 offset:208
	ds_read_b128 v[40:43], v151 offset:432
	;; [unrolled: 1-line block ×6, first 2 shown]
	s_waitcnt lgkmcnt(6)
	v_add_f64 v[4:5], v[52:53], v[56:57]
	v_add_f64 v[6:7], v[54:55], v[58:59]
	ds_read_b128 v[8:11], v151 offset:896
	ds_read_b128 v[36:39], v151 offset:1104
	s_mov_b32 s34, 0x4267c47c
	s_mov_b32 s30, 0x42a4c3d2
	;; [unrolled: 1-line block ×4, first 2 shown]
	s_waitcnt lgkmcnt(5)
	v_add_f64 v[4:5], v[4:5], v[60:61]
	v_add_f64 v[6:7], v[6:7], v[62:63]
	s_mov_b32 s28, 0xe00740e9
	s_mov_b32 s20, 0x1ea71119
	;; [unrolled: 1-line block ×6, first 2 shown]
	s_waitcnt lgkmcnt(3)
	v_add_f64 v[4:5], v[4:5], v[12:13]
	v_add_f64 v[6:7], v[6:7], v[14:15]
	ds_read_b128 v[32:35], v151 offset:1328
	s_mov_b32 s16, 0xebaa3ed8
	s_mov_b32 s6, 0x2ef20147
	;; [unrolled: 1-line block ×5, first 2 shown]
	s_waitcnt lgkmcnt(2)
	v_add_f64 v[16:17], v[4:5], v[8:9]
	v_add_f64 v[18:19], v[6:7], v[10:11]
	ds_read_b128 v[4:7], v151 offset:1120
	s_mov_b32 s14, 0x24c2f84
	s_mov_b32 s22, 0x4bc48dbf
	;; [unrolled: 1-line block ×5, first 2 shown]
	s_waitcnt lgkmcnt(0)
	v_add_f64 v[24:25], v[16:17], v[4:5]
	v_add_f64 v[26:27], v[18:19], v[6:7]
	ds_read_b128 v[16:19], v151 offset:1344
	ds_read_b128 v[28:31], v151 offset:1552
	;; [unrolled: 1-line block ×3, first 2 shown]
	s_mov_b32 s26, 0xd0032e0c
	s_mov_b32 s24, 0x93053d00
	;; [unrolled: 1-line block ×4, first 2 shown]
	s_waitcnt lgkmcnt(2)
	v_add_f64 v[72:73], v[24:25], v[16:17]
	v_add_f64 v[74:75], v[26:27], v[18:19]
	ds_read_b128 v[64:67], v151 offset:2464
	ds_read_b128 v[24:27], v151 offset:1776
	;; [unrolled: 1-line block ×3, first 2 shown]
	s_waitcnt lgkmcnt(3)
	v_add_f64 v[94:95], v[16:17], v[20:21]
	v_add_f64 v[96:97], v[18:19], v[22:23]
	v_add_f64 v[98:99], v[16:17], -v[20:21]
	v_add_f64 v[100:101], v[18:19], -v[22:23]
	v_add_f64 v[72:73], v[72:73], v[20:21]
	v_add_f64 v[76:77], v[74:75], v[22:23]
	ds_read_b128 v[20:23], v151 offset:2000
	ds_read_b128 v[16:19], v151 offset:2016
	s_waitcnt lgkmcnt(2)
	v_add_f64 v[102:103], v[4:5], v[68:69]
	v_add_f64 v[104:105], v[6:7], v[70:71]
	v_add_f64 v[106:107], v[4:5], -v[68:69]
	v_add_f64 v[108:109], v[6:7], -v[70:71]
	ds_read_b128 v[4:7], v151 offset:2224
	v_add_f64 v[78:79], v[72:73], v[68:69]
	v_add_f64 v[76:77], v[76:77], v[70:71]
	ds_read_b128 v[72:75], v151 offset:2240
	ds_read_b128 v[68:71], v151 offset:2688
	s_waitcnt lgkmcnt(3)
	v_add_f64 v[110:111], v[8:9], v[16:17]
	v_add_f64 v[112:113], v[10:11], v[18:19]
	v_add_f64 v[114:115], v[8:9], -v[16:17]
	v_add_f64 v[116:117], v[10:11], -v[18:19]
	v_add_f64 v[78:79], v[78:79], v[16:17]
	v_add_f64 v[76:77], v[76:77], v[18:19]
	ds_read_b128 v[16:19], v151 offset:2672
	ds_read_b128 v[8:11], v151 offset:2448
	s_waitcnt lgkmcnt(3)
	v_add_f64 v[118:119], v[12:13], v[72:73]
	v_add_f64 v[122:123], v[12:13], -v[72:73]
	s_waitcnt lgkmcnt(2)
	v_add_f64 v[80:81], v[58:59], -v[70:71]
	v_add_f64 v[128:129], v[62:63], v[66:67]
	v_add_f64 v[132:133], v[62:63], -v[66:67]
	v_add_f64 v[62:63], v[78:79], v[72:73]
	v_add_f64 v[72:73], v[76:77], v[74:75]
	v_add_f64 v[120:121], v[14:15], v[74:75]
	v_add_f64 v[124:125], v[14:15], -v[74:75]
	v_add_f64 v[126:127], v[60:61], v[64:65]
	v_add_f64 v[130:131], v[60:61], -v[64:65]
	v_add_f64 v[60:61], v[56:57], v[68:69]
	v_mul_f64 v[74:75], v[80:81], s[34:35]
	v_add_f64 v[76:77], v[58:59], v[70:71]
	v_mul_f64 v[58:59], v[80:81], s[30:31]
	v_add_f64 v[78:79], v[56:57], -v[68:69]
	v_add_f64 v[62:63], v[62:63], v[64:65]
	v_add_f64 v[64:65], v[72:73], v[66:67]
	v_mul_f64 v[140:141], v[130:131], s[30:31]
	v_mul_f64 v[155:156], v[122:123], s[18:19]
	v_fma_f64 v[66:67], v[60:61], s[28:29], -v[74:75]
	v_fma_f64 v[72:73], v[60:61], s[28:29], v[74:75]
	v_fma_f64 v[74:75], v[60:61], s[20:21], -v[58:59]
	v_fma_f64 v[90:91], v[60:61], s[20:21], v[58:59]
	v_mul_f64 v[56:57], v[80:81], s[18:19]
	v_add_f64 v[58:59], v[64:65], v[70:71]
	v_mul_f64 v[64:65], v[78:79], s[34:35]
	v_fma_f64 v[146:147], v[128:129], s[20:21], v[140:141]
	v_mul_f64 v[161:162], v[114:115], s[6:7]
	v_mul_f64 v[82:83], v[80:81], s[6:7]
	;; [unrolled: 1-line block ×4, first 2 shown]
	v_fma_f64 v[92:93], v[60:61], s[16:17], -v[56:57]
	v_fma_f64 v[134:135], v[60:61], s[16:17], v[56:57]
	v_fma_f64 v[136:137], v[76:77], s[28:29], v[64:65]
	v_add_f64 v[56:57], v[62:63], v[68:69]
	v_mul_f64 v[62:63], v[80:81], s[14:15]
	v_mul_f64 v[68:69], v[80:81], s[22:23]
	v_fma_f64 v[64:65], v[76:77], s[28:29], -v[64:65]
	v_mul_f64 v[171:172], v[106:107], s[14:15]
	v_fma_f64 v[70:71], v[60:61], s[8:9], -v[82:83]
	v_fma_f64 v[80:81], v[60:61], s[8:9], v[82:83]
	v_add_f64 v[136:137], v[54:55], v[136:137]
	v_add_f64 v[66:67], v[52:53], v[66:67]
	v_fma_f64 v[82:83], v[60:61], s[26:27], -v[62:63]
	v_fma_f64 v[62:63], v[60:61], s[26:27], v[62:63]
	v_fma_f64 v[142:143], v[60:61], s[24:25], -v[68:69]
	v_fma_f64 v[144:145], v[126:127], s[20:21], -v[138:139]
	v_mul_f64 v[153:154], v[124:125], s[18:19]
	v_fma_f64 v[60:61], v[60:61], s[24:25], v[68:69]
	v_add_f64 v[136:137], v[146:147], v[136:137]
	v_fma_f64 v[146:147], v[120:121], s[16:17], v[155:156]
	v_mul_f64 v[68:69], v[78:79], s[18:19]
	v_mul_f64 v[163:164], v[78:79], s[6:7]
	;; [unrolled: 1-line block ×4, first 2 shown]
	v_fma_f64 v[167:168], v[76:77], s[20:21], v[157:158]
	v_add_f64 v[64:65], v[54:55], v[64:65]
	v_fma_f64 v[140:141], v[128:129], s[20:21], -v[140:141]
	v_add_f64 v[136:137], v[146:147], v[136:137]
	v_fma_f64 v[146:147], v[112:113], s[8:9], v[161:162]
	v_add_f64 v[66:67], v[144:145], v[66:67]
	v_fma_f64 v[144:145], v[118:119], s[16:17], -v[153:154]
	v_mul_f64 v[159:160], v[116:117], s[6:7]
	v_fma_f64 v[157:158], v[76:77], s[20:21], -v[157:158]
	v_fma_f64 v[173:174], v[76:77], s[16:17], v[68:69]
	v_fma_f64 v[68:69], v[76:77], s[16:17], -v[68:69]
	v_fma_f64 v[175:176], v[76:77], s[8:9], v[163:164]
	v_add_f64 v[136:137], v[146:147], v[136:137]
	v_fma_f64 v[146:147], v[104:105], s[26:27], v[171:172]
	v_add_f64 v[72:73], v[52:53], v[72:73]
	v_fma_f64 v[138:139], v[126:127], s[20:21], v[138:139]
	v_fma_f64 v[163:164], v[76:77], s[8:9], -v[163:164]
	v_fma_f64 v[177:178], v[76:77], s[26:27], v[165:166]
	v_fma_f64 v[165:166], v[76:77], s[26:27], -v[165:166]
	;; [unrolled: 2-line block ×3, first 2 shown]
	v_add_f64 v[78:79], v[146:147], v[136:137]
	v_add_f64 v[136:137], v[54:55], v[167:168]
	;; [unrolled: 1-line block ×4, first 2 shown]
	v_mul_f64 v[64:65], v[132:133], s[6:7]
	v_mul_f64 v[140:141], v[130:131], s[6:7]
	v_add_f64 v[66:67], v[144:145], v[66:67]
	v_fma_f64 v[144:145], v[110:111], s[8:9], -v[159:160]
	v_mul_f64 v[169:170], v[108:109], s[14:15]
	v_add_f64 v[72:73], v[138:139], v[72:73]
	v_add_f64 v[74:75], v[52:53], v[74:75]
	;; [unrolled: 1-line block ×6, first 2 shown]
	v_fma_f64 v[155:156], v[120:121], s[16:17], -v[155:156]
	v_fma_f64 v[175:176], v[126:127], s[8:9], -v[64:65]
	v_fma_f64 v[177:178], v[128:129], s[8:9], v[140:141]
	v_mul_f64 v[181:182], v[124:125], s[22:23]
	v_mul_f64 v[183:184], v[122:123], s[22:23]
	s_mov_b32 s39, 0x3fe5384d
	s_mov_b32 s38, s14
	v_add_f64 v[66:67], v[144:145], v[66:67]
	v_fma_f64 v[144:145], v[102:103], s[26:27], -v[169:170]
	v_add_f64 v[90:91], v[52:53], v[90:91]
	v_add_f64 v[92:93], v[52:53], v[92:93]
	;; [unrolled: 1-line block ×5, first 2 shown]
	v_fma_f64 v[153:154], v[118:119], s[16:17], v[153:154]
	v_add_f64 v[82:83], v[52:53], v[82:83]
	v_add_f64 v[142:143], v[52:53], v[142:143]
	;; [unrolled: 1-line block ×6, first 2 shown]
	v_fma_f64 v[74:75], v[118:119], s[24:25], -v[181:182]
	v_fma_f64 v[136:137], v[120:121], s[24:25], v[183:184]
	v_mul_f64 v[155:156], v[116:117], s[38:39]
	v_mul_f64 v[175:176], v[114:115], s[38:39]
	s_mov_b32 s43, 0x3fefc445
	s_mov_b32 s42, s18
	v_add_f64 v[66:67], v[144:145], v[66:67]
	v_add_f64 v[144:145], v[54:55], v[173:174]
	v_mul_f64 v[173:174], v[100:101], s[22:23]
	v_add_f64 v[72:73], v[153:154], v[72:73]
	v_fma_f64 v[153:154], v[110:111], s[8:9], v[159:160]
	v_mul_f64 v[159:160], v[98:99], s[22:23]
	v_fma_f64 v[161:162], v[112:113], s[8:9], -v[161:162]
	v_add_f64 v[60:61], v[74:75], v[60:61]
	v_add_f64 v[62:63], v[136:137], v[62:63]
	v_fma_f64 v[74:75], v[110:111], s[26:27], -v[155:156]
	v_fma_f64 v[136:137], v[112:113], s[26:27], v[175:176]
	v_mul_f64 v[187:188], v[108:109], s[42:43]
	v_mul_f64 v[189:190], v[106:107], s[42:43]
	v_fma_f64 v[177:178], v[94:95], s[24:25], -v[173:174]
	v_add_f64 v[72:73], v[153:154], v[72:73]
	v_fma_f64 v[153:154], v[96:97], s[24:25], v[159:160]
	v_fma_f64 v[169:170], v[102:103], s[26:27], v[169:170]
	v_add_f64 v[191:192], v[54:55], v[76:77]
	v_add_f64 v[76:77], v[161:162], v[52:53]
	v_fma_f64 v[161:162], v[104:105], s[26:27], -v[171:172]
	v_add_f64 v[60:61], v[74:75], v[60:61]
	v_add_f64 v[62:63], v[136:137], v[62:63]
	v_fma_f64 v[74:75], v[102:103], s[16:17], -v[187:188]
	v_fma_f64 v[136:137], v[104:105], s[16:17], v[189:190]
	v_fma_f64 v[64:65], v[126:127], s[8:9], v[64:65]
	v_add_f64 v[68:69], v[54:55], v[68:69]
	v_add_f64 v[165:166], v[54:55], v[165:166]
	;; [unrolled: 1-line block ×7, first 2 shown]
	v_fma_f64 v[76:77], v[128:129], s[8:9], -v[140:141]
	v_add_f64 v[74:75], v[74:75], v[60:61]
	v_add_f64 v[78:79], v[136:137], v[62:63]
	v_add_f64 v[60:61], v[64:65], v[90:91]
	v_fma_f64 v[62:63], v[118:119], s[24:25], v[181:182]
	v_mul_f64 v[90:91], v[132:133], s[22:23]
	v_mul_f64 v[136:137], v[130:131], s[22:23]
	s_mov_b32 s49, 0x3fddbe06
	s_mov_b32 s48, s34
	;; [unrolled: 1-line block ×4, first 2 shown]
	v_fma_f64 v[64:65], v[94:95], s[24:25], v[173:174]
	v_add_f64 v[76:77], v[76:77], v[138:139]
	v_mul_f64 v[138:139], v[100:101], s[48:49]
	v_fma_f64 v[140:141], v[120:121], s[24:25], -v[183:184]
	v_add_f64 v[62:63], v[62:63], v[60:61]
	v_fma_f64 v[153:154], v[110:111], s[26:27], v[155:156]
	v_mul_f64 v[155:156], v[98:99], s[48:49]
	v_fma_f64 v[161:162], v[126:127], s[24:25], -v[90:91]
	v_fma_f64 v[169:170], v[128:129], s[24:25], v[136:137]
	v_mul_f64 v[171:172], v[124:125], s[44:45]
	v_mul_f64 v[173:174], v[122:123], s[44:45]
	v_fma_f64 v[159:160], v[96:97], s[24:25], -v[159:160]
	v_add_f64 v[60:61], v[64:65], v[66:67]
	v_add_f64 v[66:67], v[140:141], v[76:77]
	v_fma_f64 v[64:65], v[94:95], s[28:29], -v[138:139]
	v_add_f64 v[76:77], v[153:154], v[62:63]
	v_add_f64 v[92:93], v[161:162], v[92:93]
	;; [unrolled: 1-line block ×3, first 2 shown]
	v_fma_f64 v[144:145], v[118:119], s[8:9], -v[171:172]
	v_fma_f64 v[153:154], v[120:121], s[8:9], v[173:174]
	v_mul_f64 v[161:162], v[116:117], s[48:49]
	v_mul_f64 v[169:170], v[114:115], s[48:49]
	v_fma_f64 v[177:178], v[96:97], s[28:29], v[155:156]
	v_fma_f64 v[175:176], v[112:113], s[26:27], -v[175:176]
	v_fma_f64 v[90:91], v[126:127], s[24:25], v[90:91]
	v_fma_f64 v[181:182], v[102:103], s[16:17], v[187:188]
	v_add_f64 v[62:63], v[159:160], v[72:73]
	v_add_f64 v[72:73], v[144:145], v[92:93]
	;; [unrolled: 1-line block ×3, first 2 shown]
	v_fma_f64 v[140:141], v[110:111], s[28:29], -v[161:162]
	v_fma_f64 v[144:145], v[112:113], s[28:29], v[169:170]
	v_mul_f64 v[153:154], v[108:109], s[30:31]
	v_mul_f64 v[159:160], v[106:107], s[30:31]
	v_add_f64 v[64:65], v[64:65], v[74:75]
	v_add_f64 v[74:75], v[175:176], v[66:67]
	;; [unrolled: 1-line block ×3, first 2 shown]
	v_fma_f64 v[78:79], v[128:129], s[24:25], -v[136:137]
	v_add_f64 v[90:91], v[90:91], v[134:135]
	v_fma_f64 v[134:135], v[118:119], s[8:9], v[171:172]
	v_add_f64 v[72:73], v[140:141], v[72:73]
	v_add_f64 v[92:93], v[144:145], v[92:93]
	v_fma_f64 v[140:141], v[102:103], s[20:21], -v[153:154]
	v_fma_f64 v[144:145], v[104:105], s[20:21], v[159:160]
	v_add_f64 v[76:77], v[181:182], v[76:77]
	v_fma_f64 v[136:137], v[94:95], s[28:29], v[138:139]
	v_add_f64 v[78:79], v[78:79], v[68:69]
	v_fma_f64 v[138:139], v[120:121], s[8:9], -v[173:174]
	v_add_f64 v[90:91], v[134:135], v[90:91]
	v_mul_f64 v[134:135], v[132:133], s[38:39]
	v_fma_f64 v[175:176], v[104:105], s[16:17], -v[189:190]
	v_add_f64 v[72:73], v[140:141], v[72:73]
	v_add_f64 v[92:93], v[144:145], v[92:93]
	v_mul_f64 v[140:141], v[100:101], s[14:15]
	v_fma_f64 v[144:145], v[110:111], s[28:29], v[161:162]
	v_mul_f64 v[161:162], v[98:99], s[14:15]
	v_add_f64 v[68:69], v[136:137], v[76:77]
	v_add_f64 v[76:77], v[138:139], v[78:79]
	v_mul_f64 v[78:79], v[130:131], s[38:39]
	v_fma_f64 v[138:139], v[126:127], s[26:27], -v[134:135]
	v_mul_f64 v[171:172], v[124:125], s[48:49]
	v_add_f64 v[74:75], v[175:176], v[74:75]
	v_fma_f64 v[155:156], v[96:97], s[28:29], -v[155:156]
	v_fma_f64 v[136:137], v[94:95], s[26:27], -v[140:141]
	v_add_f64 v[90:91], v[144:145], v[90:91]
	v_fma_f64 v[144:145], v[96:97], s[26:27], v[161:162]
	v_fma_f64 v[169:170], v[112:113], s[28:29], -v[169:170]
	v_fma_f64 v[153:154], v[102:103], s[20:21], v[153:154]
	v_fma_f64 v[173:174], v[128:129], s[26:27], v[78:79]
	v_mul_f64 v[175:176], v[122:123], s[48:49]
	v_add_f64 v[138:139], v[138:139], v[70:71]
	v_fma_f64 v[177:178], v[118:119], s[28:29], -v[171:172]
	v_mul_f64 v[181:182], v[116:117], s[18:19]
	s_mov_b32 s37, 0x3fcea1e5
	s_mov_b32 s36, s22
	v_add_f64 v[70:71], v[155:156], v[74:75]
	v_add_f64 v[72:73], v[136:137], v[72:73]
	;; [unrolled: 1-line block ×5, first 2 shown]
	v_fma_f64 v[136:137], v[120:121], s[28:29], v[175:176]
	v_add_f64 v[138:139], v[177:178], v[138:139]
	v_fma_f64 v[144:145], v[110:111], s[16:17], -v[181:182]
	v_mul_f64 v[146:147], v[114:115], s[18:19]
	v_mul_f64 v[155:156], v[108:109], s[36:37]
	v_add_f64 v[90:91], v[153:154], v[90:91]
	v_fma_f64 v[153:154], v[104:105], s[20:21], -v[159:160]
	v_fma_f64 v[134:135], v[126:127], s[26:27], v[134:135]
	v_fma_f64 v[78:79], v[128:129], s[26:27], -v[78:79]
	v_add_f64 v[92:93], v[136:137], v[92:93]
	v_add_f64 v[136:137], v[144:145], v[138:139]
	v_fma_f64 v[138:139], v[112:113], s[16:17], v[146:147]
	v_fma_f64 v[144:145], v[102:103], s[24:25], -v[155:156]
	v_mul_f64 v[159:160], v[106:107], s[36:37]
	v_add_f64 v[153:154], v[153:154], v[76:77]
	v_add_f64 v[76:77], v[134:135], v[80:81]
	v_fma_f64 v[80:81], v[118:119], s[28:29], v[171:172]
	v_add_f64 v[78:79], v[78:79], v[157:158]
	v_fma_f64 v[134:135], v[120:121], s[28:29], -v[175:176]
	s_mov_b32 s47, 0x3fea55e2
	s_mov_b32 s46, s30
	v_add_f64 v[92:93], v[138:139], v[92:93]
	v_add_f64 v[136:137], v[144:145], v[136:137]
	v_fma_f64 v[138:139], v[104:105], s[24:25], v[159:160]
	v_add_f64 v[76:77], v[80:81], v[76:77]
	v_mul_f64 v[144:145], v[100:101], s[46:47]
	v_add_f64 v[78:79], v[134:135], v[78:79]
	v_fma_f64 v[80:81], v[110:111], s[16:17], v[181:182]
	v_mul_f64 v[134:135], v[98:99], s[46:47]
	v_fma_f64 v[146:147], v[112:113], s[16:17], -v[146:147]
	v_fma_f64 v[140:141], v[94:95], s[26:27], v[140:141]
	v_mul_f64 v[157:158], v[132:133], s[42:43]
	v_mul_f64 v[173:174], v[130:131], s[42:43]
	v_fma_f64 v[161:162], v[96:97], s[26:27], -v[161:162]
	v_add_f64 v[92:93], v[138:139], v[92:93]
	v_fma_f64 v[138:139], v[94:95], s[20:21], -v[144:145]
	v_add_f64 v[169:170], v[80:81], v[76:77]
	v_fma_f64 v[171:172], v[96:97], s[20:21], v[134:135]
	v_add_f64 v[146:147], v[146:147], v[78:79]
	v_fma_f64 v[80:81], v[126:127], s[16:17], -v[157:158]
	v_fma_f64 v[155:156], v[102:103], s[24:25], v[155:156]
	v_fma_f64 v[159:160], v[104:105], s[24:25], -v[159:160]
	v_add_f64 v[76:77], v[140:141], v[90:91]
	v_fma_f64 v[90:91], v[128:129], s[16:17], v[173:174]
	v_mul_f64 v[140:141], v[122:123], s[30:31]
	v_mul_f64 v[175:176], v[124:125], s[30:31]
	v_add_f64 v[78:79], v[161:162], v[153:154]
	v_add_f64 v[153:154], v[80:81], v[82:83]
	;; [unrolled: 1-line block ×6, first 2 shown]
	v_fma_f64 v[136:137], v[120:121], s[20:21], v[140:141]
	v_add_f64 v[146:147], v[159:160], v[146:147]
	v_fma_f64 v[144:145], v[94:95], s[20:21], v[144:145]
	v_fma_f64 v[134:135], v[96:97], s[20:21], -v[134:135]
	v_fma_f64 v[157:158], v[126:127], s[16:17], v[157:158]
	v_fma_f64 v[161:162], v[118:119], s[20:21], -v[175:176]
	v_mul_f64 v[177:178], v[116:117], s[36:37]
	v_mul_f64 v[138:139], v[114:115], s[36:37]
	v_add_f64 v[136:137], v[136:137], v[90:91]
	v_fma_f64 v[140:141], v[120:121], s[20:21], -v[140:141]
	v_add_f64 v[90:91], v[144:145], v[92:93]
	v_fma_f64 v[144:145], v[128:129], s[16:17], -v[173:174]
	v_add_f64 v[92:93], v[134:135], v[146:147]
	v_add_f64 v[134:135], v[157:158], v[167:168]
	v_fma_f64 v[146:147], v[118:119], s[20:21], v[175:176]
	v_add_f64 v[153:154], v[161:162], v[153:154]
	v_fma_f64 v[155:156], v[110:111], s[24:25], -v[177:178]
	v_mul_f64 v[161:162], v[108:109], s[48:49]
	v_mul_f64 v[132:133], v[132:133], s[48:49]
	v_add_f64 v[144:145], v[144:145], v[165:166]
	v_mul_f64 v[130:131], v[130:131], s[48:49]
	v_fma_f64 v[159:160], v[112:113], s[24:25], v[138:139]
	v_add_f64 v[134:135], v[146:147], v[134:135]
	v_fma_f64 v[146:147], v[110:111], s[24:25], v[177:178]
	v_add_f64 v[153:154], v[155:156], v[153:154]
	v_fma_f64 v[155:156], v[102:103], s[28:29], -v[161:162]
	v_mul_f64 v[163:164], v[106:107], s[48:49]
	v_add_f64 v[140:141], v[140:141], v[144:145]
	v_fma_f64 v[138:139], v[112:113], s[24:25], -v[138:139]
	v_fma_f64 v[165:166], v[126:127], s[28:29], -v[132:133]
	v_mul_f64 v[124:125], v[124:125], s[14:15]
	v_add_f64 v[134:135], v[146:147], v[134:135]
	v_fma_f64 v[146:147], v[102:103], s[28:29], v[161:162]
	v_fma_f64 v[161:162], v[128:129], s[28:29], v[130:131]
	v_mul_f64 v[122:123], v[122:123], s[14:15]
	v_fma_f64 v[126:127], v[126:127], s[28:29], v[132:133]
	v_fma_f64 v[128:129], v[128:129], s[28:29], -v[130:131]
	v_add_f64 v[153:154], v[155:156], v[153:154]
	v_fma_f64 v[155:156], v[104:105], s[28:29], v[163:164]
	v_add_f64 v[138:139], v[138:139], v[140:141]
	v_fma_f64 v[140:141], v[104:105], s[28:29], -v[163:164]
	v_add_f64 v[142:143], v[165:166], v[142:143]
	v_fma_f64 v[132:133], v[118:119], s[26:27], -v[124:125]
	v_mul_f64 v[116:117], v[116:117], s[46:47]
	v_add_f64 v[161:162], v[161:162], v[179:180]
	v_fma_f64 v[163:164], v[120:121], s[26:27], v[122:123]
	v_mul_f64 v[114:115], v[114:115], s[46:47]
	v_add_f64 v[126:127], v[126:127], v[185:186]
	v_fma_f64 v[118:119], v[118:119], s[26:27], v[124:125]
	v_add_f64 v[128:129], v[128:129], v[191:192]
	v_fma_f64 v[120:121], v[120:121], s[26:27], -v[122:123]
	v_add_f64 v[130:131], v[146:147], v[134:135]
	v_add_f64 v[124:125], v[132:133], v[142:143]
	v_fma_f64 v[132:133], v[110:111], s[20:21], -v[116:117]
	v_add_f64 v[134:135], v[163:164], v[161:162]
	v_mul_f64 v[108:109], v[108:109], s[6:7]
	v_fma_f64 v[122:123], v[112:113], s[20:21], v[114:115]
	v_mul_f64 v[106:107], v[106:107], s[6:7]
	v_add_f64 v[118:119], v[118:119], v[126:127]
	v_fma_f64 v[110:111], v[110:111], s[20:21], v[116:117]
	v_add_f64 v[120:121], v[120:121], v[128:129]
	v_fma_f64 v[112:113], v[112:113], s[20:21], -v[114:115]
	v_add_f64 v[136:137], v[159:160], v[136:137]
	v_mul_f64 v[157:158], v[100:101], s[6:7]
	v_mul_f64 v[159:160], v[98:99], s[6:7]
	v_add_f64 v[124:125], v[132:133], v[124:125]
	v_fma_f64 v[114:115], v[102:103], s[8:9], -v[108:109]
	v_add_f64 v[122:123], v[122:123], v[134:135]
	v_fma_f64 v[102:103], v[102:103], s[8:9], v[108:109]
	v_fma_f64 v[108:109], v[104:105], s[8:9], v[106:107]
	v_mul_f64 v[100:101], v[100:101], s[42:43]
	v_mul_f64 v[98:99], v[98:99], s[42:43]
	v_add_f64 v[110:111], v[110:111], v[118:119]
	v_add_f64 v[112:113], v[112:113], v[120:121]
	v_fma_f64 v[104:105], v[104:105], s[8:9], -v[106:107]
	v_add_f64 v[136:137], v[155:156], v[136:137]
	v_fma_f64 v[155:156], v[94:95], s[8:9], -v[157:158]
	v_fma_f64 v[144:145], v[96:97], s[8:9], v[159:160]
	v_add_f64 v[106:107], v[114:115], v[124:125]
	v_add_f64 v[108:109], v[108:109], v[122:123]
	v_fma_f64 v[120:121], v[94:95], s[16:17], -v[100:101]
	v_fma_f64 v[122:123], v[96:97], s[16:17], v[98:99]
	v_add_f64 v[110:111], v[102:103], v[110:111]
	v_add_f64 v[112:113], v[104:105], v[112:113]
	v_fma_f64 v[124:125], v[94:95], s[16:17], v[100:101]
	v_fma_f64 v[126:127], v[96:97], s[16:17], -v[98:99]
	v_add_f64 v[116:117], v[140:141], v[138:139]
	v_fma_f64 v[114:115], v[94:95], s[8:9], v[157:158]
	v_fma_f64 v[118:119], v[96:97], s[8:9], -v[159:160]
	ds_read_b128 v[12:15], v151 offset:2896
	v_add_f64 v[94:95], v[155:156], v[153:154]
	v_add_f64 v[96:97], v[144:145], v[136:137]
	v_add_f64 v[102:103], v[120:121], v[106:107]
	v_add_f64 v[104:105], v[122:123], v[108:109]
	s_movk_i32 s0, 0xd0
	v_add_f64 v[106:107], v[124:125], v[110:111]
	v_add_f64 v[108:109], v[126:127], v[112:113]
	v_mad_u32_u24 v87, v86, s0, v148
	v_cmp_ne_u32_e64 s[0:1], 0, v86
	v_cmp_eq_u32_e64 s[2:3], 0, v86
	v_add_f64 v[98:99], v[114:115], v[130:131]
	v_add_f64 v[100:101], v[118:119], v[116:117]
	s_waitcnt lgkmcnt(0)
	; wave barrier
	s_waitcnt lgkmcnt(0)
	ds_write_b128 v87, v[56:59]
	ds_write_b128 v87, v[52:55] offset:16
	ds_write_b128 v87, v[64:67] offset:32
	ds_write_b128 v87, v[72:75] offset:48
	ds_write_b128 v87, v[80:83] offset:64
	ds_write_b128 v87, v[94:97] offset:80
	ds_write_b128 v87, v[102:105] offset:96
	ds_write_b128 v87, v[106:109] offset:112
	ds_write_b128 v87, v[98:101] offset:128
	ds_write_b128 v87, v[90:93] offset:144
	ds_write_b128 v87, v[76:79] offset:160
	ds_write_b128 v87, v[68:71] offset:176
	ds_write_b128 v87, v[60:63] offset:192
	s_and_saveexec_b64 s[40:41], s[2:3]
	s_cbranch_execz .LBB0_15
; %bb.14:
	v_add_f64 v[134:135], v[42:43], v[14:15]
	v_add_f64 v[132:133], v[50:51], v[18:19]
	v_add_f64 v[108:109], v[40:41], -v[12:13]
	v_add_f64 v[130:131], v[46:47], v[10:11]
	v_add_f64 v[106:107], v[48:49], -v[16:17]
	v_add_f64 v[122:123], v[42:43], -v[14:15]
	v_add_f64 v[128:129], v[38:39], v[6:7]
	v_add_f64 v[98:99], v[44:45], -v[8:9]
	v_mul_f64 v[52:53], v[134:135], s[24:25]
	v_mul_f64 v[54:55], v[132:133], s[28:29]
	v_add_f64 v[124:125], v[50:51], -v[18:19]
	v_mul_f64 v[58:59], v[130:131], s[26:27]
	v_add_f64 v[120:121], v[40:41], v[12:13]
	v_mul_f64 v[62:63], v[122:123], s[22:23]
	v_add_f64 v[92:93], v[36:37], -v[4:5]
	v_add_f64 v[118:119], v[46:47], -v[10:11]
	v_fma_f64 v[56:57], v[108:109], s[36:37], v[52:53]
	v_fma_f64 v[60:61], v[106:107], s[34:35], v[54:55]
	v_add_f64 v[104:105], v[48:49], v[16:17]
	v_mul_f64 v[64:65], v[128:129], s[20:21]
	v_fma_f64 v[68:69], v[98:99], s[38:39], v[58:59]
	v_mul_f64 v[70:71], v[124:125], s[48:49]
	v_fma_f64 v[72:73], v[120:121], s[24:25], v[62:63]
	v_fma_f64 v[52:53], v[108:109], s[22:23], v[52:53]
	v_add_f64 v[56:57], v[2:3], v[56:57]
	v_fma_f64 v[62:63], v[120:121], s[24:25], -v[62:63]
	v_add_f64 v[126:127], v[34:35], v[22:23]
	v_add_f64 v[114:115], v[38:39], -v[6:7]
	v_add_f64 v[96:97], v[44:45], v[8:9]
	v_mul_f64 v[74:75], v[118:119], s[14:15]
	v_fma_f64 v[76:77], v[92:93], s[30:31], v[64:65]
	v_fma_f64 v[78:79], v[104:105], s[28:29], v[70:71]
	v_add_f64 v[56:57], v[60:61], v[56:57]
	v_add_f64 v[72:73], v[0:1], v[72:73]
	v_fma_f64 v[54:55], v[106:107], s[48:49], v[54:55]
	v_fma_f64 v[70:71], v[104:105], s[28:29], -v[70:71]
	v_add_f64 v[52:53], v[2:3], v[52:53]
	v_add_f64 v[62:63], v[0:1], v[62:63]
	;; [unrolled: 1-line block ×3, first 2 shown]
	v_add_f64 v[90:91], v[32:33], -v[20:21]
	v_add_f64 v[56:57], v[68:69], v[56:57]
	v_add_f64 v[112:113], v[34:35], -v[22:23]
	v_add_f64 v[94:95], v[36:37], v[4:5]
	v_mul_f64 v[60:61], v[126:127], s[8:9]
	v_fma_f64 v[82:83], v[96:97], s[26:27], v[74:75]
	v_add_f64 v[72:73], v[78:79], v[72:73]
	v_fma_f64 v[58:59], v[98:99], s[14:15], v[58:59]
	v_add_f64 v[52:53], v[54:55], v[52:53]
	v_add_f64 v[56:57], v[76:77], v[56:57]
	v_mul_f64 v[76:77], v[114:115], s[46:47]
	v_fma_f64 v[54:55], v[96:97], s[26:27], -v[74:75]
	v_add_f64 v[62:63], v[70:71], v[62:63]
	v_add_f64 v[80:81], v[28:29], -v[24:25]
	v_add_f64 v[110:111], v[30:31], -v[26:27]
	v_mul_f64 v[66:67], v[116:117], s[16:17]
	v_fma_f64 v[68:69], v[90:91], s[44:45], v[60:61]
	v_add_f64 v[100:101], v[32:33], v[20:21]
	v_mul_f64 v[70:71], v[112:113], s[6:7]
	v_fma_f64 v[74:75], v[94:95], s[20:21], v[76:77]
	v_add_f64 v[72:73], v[82:83], v[72:73]
	v_fma_f64 v[64:65], v[92:93], s[46:47], v[64:65]
	v_add_f64 v[52:53], v[58:59], v[52:53]
	v_fma_f64 v[58:59], v[94:95], s[20:21], -v[76:77]
	v_add_f64 v[54:55], v[54:55], v[62:63]
	v_add_f64 v[102:103], v[28:29], v[24:25]
	v_mul_f64 v[62:63], v[110:111], s[42:43]
	v_fma_f64 v[76:77], v[100:101], s[8:9], v[70:71]
	v_add_f64 v[72:73], v[74:75], v[72:73]
	v_fma_f64 v[74:75], v[80:81], s[18:19], v[66:67]
	v_fma_f64 v[60:61], v[90:91], s[6:7], v[60:61]
	v_add_f64 v[52:53], v[64:65], v[52:53]
	v_fma_f64 v[64:65], v[100:101], s[8:9], -v[70:71]
	v_add_f64 v[54:55], v[58:59], v[54:55]
	v_add_f64 v[56:57], v[68:69], v[56:57]
	v_fma_f64 v[58:59], v[102:103], s[16:17], v[62:63]
	v_add_f64 v[68:69], v[76:77], v[72:73]
	v_mul_f64 v[70:71], v[134:135], s[26:27]
	v_fma_f64 v[66:67], v[80:81], s[42:43], v[66:67]
	v_add_f64 v[60:61], v[60:61], v[52:53]
	v_fma_f64 v[62:63], v[102:103], s[16:17], -v[62:63]
	v_add_f64 v[64:65], v[64:65], v[54:55]
	v_add_f64 v[54:55], v[74:75], v[56:57]
	v_mul_f64 v[74:75], v[122:123], s[14:15]
	v_mul_f64 v[72:73], v[132:133], s[16:17]
	v_fma_f64 v[76:77], v[108:109], s[38:39], v[70:71]
	v_add_f64 v[52:53], v[58:59], v[68:69]
	v_add_f64 v[58:59], v[66:67], v[60:61]
	v_mul_f64 v[60:61], v[130:131], s[20:21]
	v_add_f64 v[56:57], v[62:63], v[64:65]
	v_mul_f64 v[64:65], v[124:125], s[42:43]
	v_fma_f64 v[66:67], v[120:121], s[26:27], v[74:75]
	v_fma_f64 v[62:63], v[106:107], s[18:19], v[72:73]
	v_add_f64 v[68:69], v[2:3], v[76:77]
	v_fma_f64 v[70:71], v[108:109], s[14:15], v[70:71]
	v_mul_f64 v[136:137], v[118:119], s[30:31]
	v_mul_f64 v[78:79], v[128:129], s[24:25]
	v_fma_f64 v[82:83], v[98:99], s[46:47], v[60:61]
	v_fma_f64 v[138:139], v[104:105], s[16:17], v[64:65]
	v_add_f64 v[66:67], v[0:1], v[66:67]
	v_fma_f64 v[72:73], v[106:107], s[42:43], v[72:73]
	v_add_f64 v[62:63], v[62:63], v[68:69]
	v_add_f64 v[70:71], v[2:3], v[70:71]
	v_mul_f64 v[142:143], v[114:115], s[36:37]
	v_fma_f64 v[144:145], v[96:97], s[20:21], v[136:137]
	v_mul_f64 v[68:69], v[126:127], s[28:29]
	v_fma_f64 v[140:141], v[92:93], s[22:23], v[78:79]
	v_add_f64 v[66:67], v[138:139], v[66:67]
	v_fma_f64 v[60:61], v[98:99], s[30:31], v[60:61]
	v_add_f64 v[62:63], v[82:83], v[62:63]
	v_fma_f64 v[74:75], v[120:121], s[26:27], -v[74:75]
	v_add_f64 v[70:71], v[72:73], v[70:71]
	v_mul_f64 v[72:73], v[112:113], s[48:49]
	v_fma_f64 v[138:139], v[94:95], s[24:25], v[142:143]
	v_mul_f64 v[76:77], v[116:117], s[8:9]
	v_add_f64 v[66:67], v[144:145], v[66:67]
	v_fma_f64 v[82:83], v[90:91], s[34:35], v[68:69]
	v_add_f64 v[62:63], v[140:141], v[62:63]
	v_fma_f64 v[78:79], v[92:93], s[36:37], v[78:79]
	v_fma_f64 v[64:65], v[104:105], s[16:17], -v[64:65]
	v_add_f64 v[74:75], v[0:1], v[74:75]
	v_add_f64 v[60:61], v[60:61], v[70:71]
	v_mul_f64 v[70:71], v[110:111], s[6:7]
	v_fma_f64 v[140:141], v[100:101], s[28:29], v[72:73]
	v_add_f64 v[66:67], v[138:139], v[66:67]
	v_fma_f64 v[138:139], v[80:81], s[44:45], v[76:77]
	v_fma_f64 v[68:69], v[90:91], s[48:49], v[68:69]
	v_fma_f64 v[136:137], v[96:97], s[20:21], -v[136:137]
	v_add_f64 v[64:65], v[64:65], v[74:75]
	v_add_f64 v[60:61], v[78:79], v[60:61]
	;; [unrolled: 1-line block ×3, first 2 shown]
	v_fma_f64 v[74:75], v[102:103], s[8:9], v[70:71]
	v_add_f64 v[66:67], v[140:141], v[66:67]
	v_mul_f64 v[82:83], v[134:135], s[8:9]
	v_fma_f64 v[76:77], v[80:81], s[6:7], v[76:77]
	v_fma_f64 v[78:79], v[94:95], s[24:25], -v[142:143]
	v_add_f64 v[64:65], v[136:137], v[64:65]
	v_add_f64 v[68:69], v[68:69], v[60:61]
	;; [unrolled: 1-line block ×3, first 2 shown]
	v_mul_f64 v[136:137], v[122:123], s[6:7]
	v_add_f64 v[60:61], v[74:75], v[66:67]
	v_mul_f64 v[74:75], v[132:133], s[26:27]
	v_fma_f64 v[138:139], v[108:109], s[44:45], v[82:83]
	v_fma_f64 v[72:73], v[100:101], s[28:29], -v[72:73]
	v_add_f64 v[64:65], v[78:79], v[64:65]
	v_add_f64 v[66:67], v[76:77], v[68:69]
	v_mul_f64 v[68:69], v[124:125], s[38:39]
	v_fma_f64 v[76:77], v[120:121], s[8:9], v[136:137]
	v_mul_f64 v[78:79], v[130:131], s[28:29]
	v_fma_f64 v[140:141], v[106:107], s[14:15], v[74:75]
	v_add_f64 v[138:139], v[2:3], v[138:139]
	v_mul_f64 v[144:145], v[128:129], s[16:17]
	v_add_f64 v[64:65], v[72:73], v[64:65]
	v_mul_f64 v[72:73], v[118:119], s[48:49]
	v_fma_f64 v[142:143], v[104:105], s[26:27], v[68:69]
	v_add_f64 v[76:77], v[0:1], v[76:77]
	v_fma_f64 v[82:83], v[108:109], s[6:7], v[82:83]
	v_fma_f64 v[146:147], v[98:99], s[34:35], v[78:79]
	v_add_f64 v[138:139], v[140:141], v[138:139]
	v_mul_f64 v[140:141], v[126:127], s[24:25]
	v_mul_f64 v[153:154], v[114:115], s[18:19]
	v_fma_f64 v[155:156], v[96:97], s[28:29], v[72:73]
	v_fma_f64 v[74:75], v[106:107], s[38:39], v[74:75]
	v_add_f64 v[76:77], v[142:143], v[76:77]
	v_add_f64 v[82:83], v[2:3], v[82:83]
	v_fma_f64 v[142:143], v[92:93], s[42:43], v[144:145]
	v_add_f64 v[138:139], v[146:147], v[138:139]
	v_mul_f64 v[146:147], v[116:117], s[20:21]
	v_mul_f64 v[157:158], v[112:113], s[36:37]
	v_fma_f64 v[159:160], v[94:95], s[16:17], v[153:154]
	v_fma_f64 v[78:79], v[98:99], s[48:49], v[78:79]
	v_add_f64 v[76:77], v[155:156], v[76:77]
	v_add_f64 v[74:75], v[74:75], v[82:83]
	v_fma_f64 v[82:83], v[90:91], s[22:23], v[140:141]
	v_add_f64 v[138:139], v[142:143], v[138:139]
	v_fma_f64 v[136:137], v[120:121], s[8:9], -v[136:137]
	v_fma_f64 v[70:71], v[102:103], s[8:9], -v[70:71]
	v_mul_f64 v[142:143], v[110:111], s[46:47]
	v_fma_f64 v[155:156], v[100:101], s[24:25], v[157:158]
	v_add_f64 v[76:77], v[159:160], v[76:77]
	v_fma_f64 v[144:145], v[92:93], s[18:19], v[144:145]
	v_add_f64 v[74:75], v[78:79], v[74:75]
	;; [unrolled: 2-line block ×3, first 2 shown]
	v_fma_f64 v[68:69], v[104:105], s[26:27], -v[68:69]
	v_add_f64 v[136:137], v[0:1], v[136:137]
	v_fma_f64 v[138:139], v[102:103], s[20:21], v[142:143]
	v_add_f64 v[76:77], v[155:156], v[76:77]
	v_fma_f64 v[140:141], v[90:91], s[36:37], v[140:141]
	v_add_f64 v[74:75], v[144:145], v[74:75]
	v_add_f64 v[64:65], v[70:71], v[64:65]
	;; [unrolled: 1-line block ×3, first 2 shown]
	v_fma_f64 v[72:73], v[96:97], s[28:29], -v[72:73]
	v_mul_f64 v[78:79], v[134:135], s[16:17]
	v_add_f64 v[82:83], v[68:69], v[136:137]
	v_mul_f64 v[136:137], v[122:123], s[18:19]
	v_add_f64 v[68:69], v[138:139], v[76:77]
	v_fma_f64 v[76:77], v[80:81], s[46:47], v[146:147]
	v_add_f64 v[74:75], v[140:141], v[74:75]
	v_fma_f64 v[138:139], v[94:95], s[16:17], -v[153:154]
	v_mul_f64 v[140:141], v[132:133], s[24:25]
	v_fma_f64 v[144:145], v[108:109], s[42:43], v[78:79]
	v_add_f64 v[72:73], v[72:73], v[82:83]
	v_mul_f64 v[146:147], v[124:125], s[22:23]
	v_fma_f64 v[153:154], v[120:121], s[16:17], v[136:137]
	v_fma_f64 v[82:83], v[102:103], s[20:21], -v[142:143]
	v_fma_f64 v[142:143], v[100:101], s[24:25], -v[157:158]
	v_mul_f64 v[155:156], v[130:131], s[8:9]
	v_fma_f64 v[157:158], v[106:107], s[36:37], v[140:141]
	v_add_f64 v[144:145], v[2:3], v[144:145]
	v_add_f64 v[72:73], v[138:139], v[72:73]
	v_fma_f64 v[78:79], v[108:109], s[18:19], v[78:79]
	v_mul_f64 v[138:139], v[118:119], s[44:45]
	v_fma_f64 v[159:160], v[104:105], s[24:25], v[146:147]
	v_add_f64 v[153:154], v[0:1], v[153:154]
	v_mul_f64 v[161:162], v[128:129], s[28:29]
	v_fma_f64 v[163:164], v[98:99], s[6:7], v[155:156]
	v_add_f64 v[144:145], v[157:158], v[144:145]
	v_fma_f64 v[140:141], v[106:107], s[22:23], v[140:141]
	v_add_f64 v[78:79], v[2:3], v[78:79]
	v_mul_f64 v[157:158], v[114:115], s[48:49]
	v_fma_f64 v[165:166], v[96:97], s[8:9], v[138:139]
	v_add_f64 v[153:154], v[159:160], v[153:154]
	v_mul_f64 v[159:160], v[126:127], s[20:21]
	v_fma_f64 v[167:168], v[92:93], s[34:35], v[161:162]
	v_add_f64 v[144:145], v[163:164], v[144:145]
	v_fma_f64 v[155:156], v[98:99], s[44:45], v[155:156]
	v_add_f64 v[78:79], v[140:141], v[78:79]
	;; [unrolled: 8-line block ×3, first 2 shown]
	v_mul_f64 v[167:168], v[110:111], s[14:15]
	v_fma_f64 v[171:172], v[100:101], s[20:21], v[140:141]
	v_add_f64 v[153:154], v[163:164], v[153:154]
	v_add_f64 v[72:73], v[142:143], v[72:73]
	;; [unrolled: 1-line block ×3, first 2 shown]
	v_fma_f64 v[74:75], v[80:81], s[38:39], v[165:166]
	v_fma_f64 v[142:143], v[90:91], s[30:31], v[159:160]
	v_add_f64 v[155:156], v[161:162], v[155:156]
	v_add_f64 v[144:145], v[169:170], v[144:145]
	v_fma_f64 v[159:160], v[102:103], s[26:27], v[167:168]
	v_add_f64 v[153:154], v[171:172], v[153:154]
	v_mul_f64 v[161:162], v[134:135], s[20:21]
	v_add_f64 v[76:77], v[82:83], v[72:73]
	v_fma_f64 v[82:83], v[80:81], s[14:15], v[165:166]
	v_fma_f64 v[136:137], v[120:121], s[16:17], -v[136:137]
	v_add_f64 v[142:143], v[142:143], v[155:156]
	v_add_f64 v[74:75], v[74:75], v[144:145]
	v_mul_f64 v[155:156], v[122:123], s[30:31]
	v_add_f64 v[72:73], v[159:160], v[153:154]
	v_mul_f64 v[144:145], v[132:133], s[8:9]
	v_fma_f64 v[153:154], v[108:109], s[46:47], v[161:162]
	v_add_f64 v[42:43], v[2:3], v[42:43]
	v_add_f64 v[40:41], v[0:1], v[40:41]
	v_fma_f64 v[146:147], v[104:105], s[24:25], -v[146:147]
	v_add_f64 v[136:137], v[0:1], v[136:137]
	v_add_f64 v[82:83], v[82:83], v[142:143]
	v_mul_f64 v[159:160], v[124:125], s[6:7]
	v_fma_f64 v[142:143], v[120:121], s[20:21], v[155:156]
	v_mul_f64 v[163:164], v[130:131], s[24:25]
	v_fma_f64 v[165:166], v[106:107], s[44:45], v[144:145]
	v_add_f64 v[153:154], v[2:3], v[153:154]
	v_add_f64 v[42:43], v[42:43], v[50:51]
	;; [unrolled: 1-line block ×3, first 2 shown]
	v_fma_f64 v[138:139], v[96:97], s[8:9], -v[138:139]
	v_add_f64 v[136:137], v[146:147], v[136:137]
	v_mul_f64 v[169:170], v[118:119], s[22:23]
	v_fma_f64 v[146:147], v[104:105], s[8:9], v[159:160]
	v_add_f64 v[142:143], v[0:1], v[142:143]
	v_mul_f64 v[171:172], v[128:129], s[26:27]
	v_fma_f64 v[173:174], v[98:99], s[36:37], v[163:164]
	v_add_f64 v[153:154], v[165:166], v[153:154]
	v_add_f64 v[42:43], v[42:43], v[46:47]
	;; [unrolled: 1-line block ×3, first 2 shown]
	v_fma_f64 v[157:158], v[94:95], s[28:29], -v[157:158]
	v_add_f64 v[136:137], v[138:139], v[136:137]
	v_mul_f64 v[165:166], v[114:115], s[38:39]
	v_fma_f64 v[138:139], v[96:97], s[24:25], v[169:170]
	v_add_f64 v[142:143], v[146:147], v[142:143]
	v_fma_f64 v[146:147], v[92:93], s[14:15], v[171:172]
	v_add_f64 v[153:154], v[173:174], v[153:154]
	v_add_f64 v[38:39], v[42:43], v[38:39]
	;; [unrolled: 1-line block ×3, first 2 shown]
	v_fma_f64 v[140:141], v[100:101], s[20:21], -v[140:141]
	v_add_f64 v[157:158], v[157:158], v[136:137]
	v_fma_f64 v[177:178], v[94:95], s[26:27], v[165:166]
	v_add_f64 v[138:139], v[138:139], v[142:143]
	v_fma_f64 v[155:156], v[120:121], s[20:21], -v[155:156]
	v_add_f64 v[146:147], v[146:147], v[153:154]
	v_fma_f64 v[153:154], v[108:109], s[30:31], v[161:162]
	v_add_f64 v[34:35], v[38:39], v[34:35]
	v_add_f64 v[32:33], v[40:41], v[32:33]
	v_mul_f64 v[134:135], v[134:135], s[28:29]
	v_mul_f64 v[38:39], v[122:123], s[34:35]
	v_add_f64 v[177:178], v[177:178], v[138:139]
	v_add_f64 v[138:139], v[140:141], v[157:158]
	v_fma_f64 v[157:158], v[106:107], s[6:7], v[144:145]
	v_add_f64 v[153:154], v[2:3], v[153:154]
	v_add_f64 v[30:31], v[34:35], v[30:31]
	;; [unrolled: 1-line block ×3, first 2 shown]
	v_mul_f64 v[173:174], v[112:113], s[42:43]
	v_mul_f64 v[161:162], v[110:111], s[48:49]
	v_fma_f64 v[163:164], v[98:99], s[22:23], v[163:164]
	v_add_f64 v[155:156], v[0:1], v[155:156]
	v_mul_f64 v[132:133], v[132:133], s[20:21]
	v_add_f64 v[153:154], v[157:158], v[153:154]
	v_fma_f64 v[157:158], v[104:105], s[8:9], -v[159:160]
	v_fma_f64 v[159:160], v[92:93], s[38:39], v[171:172]
	v_fma_f64 v[171:172], v[108:109], s[48:49], v[134:135]
	v_mul_f64 v[40:41], v[110:111], s[22:23]
	v_mul_f64 v[110:111], v[112:113], s[14:15]
	;; [unrolled: 1-line block ×3, first 2 shown]
	v_fma_f64 v[108:109], v[108:109], s[34:35], v[134:135]
	v_mul_f64 v[114:115], v[124:125], s[30:31]
	v_fma_f64 v[32:33], v[120:121], s[28:29], -v[38:39]
	v_fma_f64 v[38:39], v[120:121], s[28:29], v[38:39]
	v_add_f64 v[26:27], v[30:31], v[26:27]
	v_add_f64 v[24:25], v[28:29], v[24:25]
	v_mul_f64 v[175:176], v[126:127], s[16:17]
	v_add_f64 v[153:154], v[163:164], v[153:154]
	v_fma_f64 v[163:164], v[96:97], s[24:25], -v[169:170]
	v_add_f64 v[155:156], v[157:158], v[155:156]
	v_mul_f64 v[130:131], v[130:131], s[16:17]
	v_fma_f64 v[157:158], v[106:107], s[46:47], v[132:133]
	v_add_f64 v[169:170], v[2:3], v[171:172]
	v_mul_f64 v[34:35], v[118:119], s[18:19]
	v_fma_f64 v[106:107], v[106:107], s[30:31], v[132:133]
	v_add_f64 v[2:3], v[2:3], v[108:109]
	v_fma_f64 v[108:109], v[104:105], s[20:21], -v[114:115]
	v_add_f64 v[28:29], v[0:1], v[32:33]
	v_fma_f64 v[30:31], v[104:105], s[20:21], v[114:115]
	v_add_f64 v[0:1], v[0:1], v[38:39]
	v_add_f64 v[22:23], v[26:27], v[22:23]
	;; [unrolled: 1-line block ×3, first 2 shown]
	v_mul_f64 v[179:180], v[116:117], s[28:29]
	v_fma_f64 v[142:143], v[90:91], s[18:19], v[175:176]
	v_fma_f64 v[136:137], v[102:103], s[26:27], -v[167:168]
	v_fma_f64 v[167:168], v[100:101], s[16:17], v[173:174]
	v_fma_f64 v[175:176], v[90:91], s[42:43], v[175:176]
	v_add_f64 v[48:49], v[159:160], v[153:154]
	v_fma_f64 v[50:51], v[94:95], s[26:27], -v[165:166]
	v_add_f64 v[153:154], v[163:164], v[155:156]
	v_mul_f64 v[128:129], v[128:129], s[8:9]
	v_fma_f64 v[32:33], v[98:99], s[18:19], v[130:131]
	v_add_f64 v[2:3], v[106:107], v[2:3]
	v_fma_f64 v[38:39], v[96:97], s[16:17], -v[34:35]
	v_add_f64 v[24:25], v[108:109], v[28:29]
	v_fma_f64 v[155:156], v[98:99], s[42:43], v[130:131]
	v_add_f64 v[157:158], v[157:158], v[169:170]
	v_fma_f64 v[26:27], v[96:97], s[16:17], v[34:35]
	v_add_f64 v[0:1], v[30:31], v[0:1]
	v_add_f64 v[6:7], v[22:23], v[6:7]
	;; [unrolled: 1-line block ×5, first 2 shown]
	v_fma_f64 v[167:168], v[80:81], s[48:49], v[179:180]
	v_add_f64 v[44:45], v[175:176], v[48:49]
	v_fma_f64 v[46:47], v[100:101], s[16:17], -v[173:174]
	v_add_f64 v[48:49], v[50:51], v[153:154]
	v_mul_f64 v[50:51], v[126:127], s[26:27]
	v_fma_f64 v[28:29], v[92:93], s[6:7], v[128:129]
	v_add_f64 v[2:3], v[32:33], v[2:3]
	v_fma_f64 v[30:31], v[94:95], s[8:9], -v[112:113]
	v_add_f64 v[20:21], v[38:39], v[24:25]
	v_fma_f64 v[126:127], v[92:93], s[44:45], v[128:129]
	v_add_f64 v[153:154], v[155:156], v[157:158]
	v_fma_f64 v[22:23], v[94:95], s[8:9], v[112:113]
	v_add_f64 v[0:1], v[26:27], v[0:1]
	v_add_f64 v[6:7], v[6:7], v[10:11]
	;; [unrolled: 1-line block ×5, first 2 shown]
	v_mul_f64 v[46:47], v[116:117], s[24:25]
	v_fma_f64 v[24:25], v[90:91], s[14:15], v[50:51]
	v_add_f64 v[2:3], v[28:29], v[2:3]
	v_fma_f64 v[26:27], v[100:101], s[26:27], -v[110:111]
	v_add_f64 v[8:9], v[30:31], v[20:21]
	v_fma_f64 v[48:49], v[90:91], s[38:39], v[50:51]
	v_add_f64 v[116:117], v[126:127], v[153:154]
	v_fma_f64 v[10:11], v[100:101], s[26:27], v[110:111]
	v_add_f64 v[0:1], v[22:23], v[0:1]
	v_add_f64 v[6:7], v[6:7], v[18:19]
	;; [unrolled: 1-line block ×3, first 2 shown]
	v_fma_f64 v[20:21], v[80:81], s[22:23], v[46:47]
	v_add_f64 v[2:3], v[24:25], v[2:3]
	v_fma_f64 v[22:23], v[102:103], s[24:25], -v[40:41]
	v_add_f64 v[8:9], v[26:27], v[8:9]
	v_fma_f64 v[42:43], v[102:103], s[28:29], -v[161:162]
	v_fma_f64 v[140:141], v[80:81], s[34:35], v[179:180]
	v_fma_f64 v[144:145], v[102:103], s[28:29], v[161:162]
	;; [unrolled: 1-line block ×3, first 2 shown]
	v_add_f64 v[18:19], v[48:49], v[116:117]
	v_fma_f64 v[24:25], v[102:103], s[24:25], v[40:41]
	v_add_f64 v[26:27], v[10:11], v[0:1]
	v_add_f64 v[6:7], v[6:7], v[14:15]
	;; [unrolled: 1-line block ×11, first 2 shown]
	ds_write_b128 v148, v[4:7] offset:2704
	ds_write_b128 v148, v[0:3] offset:2720
	;; [unrolled: 1-line block ×13, first 2 shown]
.LBB0_15:
	s_or_b64 exec, exec, s[40:41]
	v_mov_b32_e32 v87, 0
	v_lshlrev_b64 v[8:9], 4, v[86:87]
	v_mov_b32_e32 v0, s13
	v_add_co_u32_e64 v2, s[2:3], s12, v8
	v_addc_co_u32_e64 v3, s[2:3], v0, v9, s[2:3]
	v_add_u16_e32 v0, 26, v86
	s_movk_i32 s2, 0x4f
	v_mul_lo_u16_sdwa v1, v0, s2 dst_sel:DWORD dst_unused:UNUSED_PAD src0_sel:BYTE_0 src1_sel:DWORD
	v_lshrrev_b16_e32 v1, 10, v1
	v_mul_lo_u16_e32 v1, 13, v1
	v_sub_u16_e32 v0, v0, v1
	v_mov_b32_e32 v1, 4
	v_lshlrev_b32_sdwa v87, v1, v0 dst_sel:DWORD dst_unused:UNUSED_PAD src0_sel:DWORD src1_sel:BYTE_0
	v_add_u16_e32 v0, 39, v86
	v_mul_lo_u16_sdwa v14, v0, s2 dst_sel:DWORD dst_unused:UNUSED_PAD src0_sel:BYTE_0 src1_sel:DWORD
	v_lshrrev_b16_e32 v14, 10, v14
	v_mul_lo_u16_e32 v14, 13, v14
	v_sub_u16_e32 v0, v0, v14
	v_lshlrev_b32_sdwa v106, v1, v0 dst_sel:DWORD dst_unused:UNUSED_PAD src0_sel:DWORD src1_sel:BYTE_0
	v_add_u16_e32 v0, 52, v86
	v_mul_lo_u16_sdwa v14, v0, s2 dst_sel:DWORD dst_unused:UNUSED_PAD src0_sel:BYTE_0 src1_sel:DWORD
	v_lshrrev_b16_e32 v14, 10, v14
	v_mul_lo_u16_e32 v14, 13, v14
	v_sub_u16_e32 v0, v0, v14
	;; [unrolled: 6-line block ×3, first 2 shown]
	v_lshlrev_b32_sdwa v108, v1, v0 dst_sel:DWORD dst_unused:UNUSED_PAD src0_sel:DWORD src1_sel:BYTE_0
	v_add_u16_e32 v0, 0x4e, v86
	v_mul_lo_u16_sdwa v22, v0, s2 dst_sel:DWORD dst_unused:UNUSED_PAD src0_sel:BYTE_0 src1_sel:DWORD
	s_waitcnt lgkmcnt(0)
	; wave barrier
	s_waitcnt lgkmcnt(0)
	global_load_dwordx4 v[4:7], v[2:3], off
	global_load_dwordx4 v[10:13], v87, s[12:13]
	v_lshrrev_b16_e32 v22, 10, v22
	v_mul_lo_u16_e32 v22, 13, v22
	global_load_dwordx4 v[14:17], v106, s[12:13]
	global_load_dwordx4 v[18:21], v107, s[12:13]
	v_sub_u16_e32 v0, v0, v22
	global_load_dwordx4 v[22:25], v108, s[12:13]
	v_lshlrev_b32_sdwa v109, v1, v0 dst_sel:DWORD dst_unused:UNUSED_PAD src0_sel:DWORD src1_sel:BYTE_0
	global_load_dwordx4 v[26:29], v109, s[12:13]
	ds_read_b128 v[30:33], v151 offset:1456
	ds_read_b128 v[34:37], v149
	ds_read_b128 v[38:41], v151 offset:208
	ds_read_b128 v[42:45], v151 offset:1664
	;; [unrolled: 1-line block ×12, first 2 shown]
	s_waitcnt lgkmcnt(0)
	; wave barrier
	s_waitcnt lgkmcnt(0)
	s_mov_b32 s6, 0x37e14327
	s_mov_b32 s2, 0x36b3c0b5
	;; [unrolled: 1-line block ×20, first 2 shown]
	s_waitcnt vmcnt(5)
	v_mul_f64 v[0:1], v[32:33], v[6:7]
	v_mul_f64 v[82:83], v[30:31], v[6:7]
	;; [unrolled: 1-line block ×4, first 2 shown]
	s_waitcnt vmcnt(4)
	v_mul_f64 v[96:97], v[48:49], v[12:13]
	v_mul_f64 v[12:13], v[46:47], v[12:13]
	s_waitcnt vmcnt(3)
	v_mul_f64 v[98:99], v[60:61], v[16:17]
	v_mul_f64 v[16:17], v[58:59], v[16:17]
	;; [unrolled: 3-line block ×5, first 2 shown]
	v_fma_f64 v[0:1], v[30:31], v[4:5], -v[0:1]
	v_fma_f64 v[30:31], v[32:33], v[4:5], v[82:83]
	v_fma_f64 v[32:33], v[42:43], v[4:5], -v[94:95]
	v_fma_f64 v[42:43], v[44:45], v[4:5], v[6:7]
	;; [unrolled: 2-line block ×7, first 2 shown]
	v_add_f64 v[4:5], v[34:35], -v[0:1]
	v_add_f64 v[6:7], v[36:37], -v[30:31]
	;; [unrolled: 1-line block ×14, first 2 shown]
	v_fma_f64 v[34:35], v[34:35], 2.0, -v[4:5]
	v_fma_f64 v[36:37], v[36:37], 2.0, -v[6:7]
	;; [unrolled: 1-line block ×14, first 2 shown]
	v_add3_u32 v0, 0, v87, v152
	ds_write_b128 v151, v[34:37]
	ds_write_b128 v151, v[4:7] offset:208
	ds_write_b128 v151, v[38:41] offset:416
	;; [unrolled: 1-line block ×5, first 2 shown]
	v_add3_u32 v0, 0, v106, v152
	ds_write_b128 v0, v[46:49] offset:1248
	ds_write_b128 v0, v[18:21] offset:1456
	v_add3_u32 v0, 0, v107, v152
	ds_write_b128 v0, v[50:53] offset:1664
	ds_write_b128 v0, v[22:25] offset:1872
	;; [unrolled: 3-line block ×4, first 2 shown]
	v_mul_u32_u24_e32 v0, 6, v86
	v_lshlrev_b32_e32 v0, 4, v0
	s_waitcnt lgkmcnt(0)
	; wave barrier
	s_waitcnt lgkmcnt(0)
	global_load_dwordx4 v[4:7], v0, s[12:13] offset:208
	global_load_dwordx4 v[10:13], v0, s[12:13] offset:224
	;; [unrolled: 1-line block ×12, first 2 shown]
	ds_read_b128 v[54:57], v149
	ds_read_b128 v[58:61], v151 offset:208
	ds_read_b128 v[62:65], v151 offset:416
	;; [unrolled: 1-line block ×13, first 2 shown]
	s_waitcnt lgkmcnt(0)
	; wave barrier
	s_waitcnt vmcnt(11) lgkmcnt(0)
	v_mul_f64 v[0:1], v[64:65], v[6:7]
	v_mul_f64 v[6:7], v[62:63], v[6:7]
	s_waitcnt vmcnt(10)
	v_mul_f64 v[82:83], v[72:73], v[12:13]
	v_mul_f64 v[12:13], v[70:71], v[12:13]
	s_waitcnt vmcnt(9)
	;; [unrolled: 3-line block ×10, first 2 shown]
	v_mul_f64 v[134:135], v[108:109], v[48:49]
	v_mul_f64 v[48:49], v[106:107], v[48:49]
	v_fma_f64 v[0:1], v[62:63], v[4:5], -v[0:1]
	v_fma_f64 v[4:5], v[64:65], v[4:5], v[6:7]
	v_fma_f64 v[6:7], v[70:71], v[10:11], -v[82:83]
	v_fma_f64 v[10:11], v[72:73], v[10:11], v[12:13]
	;; [unrolled: 2-line block ×11, first 2 shown]
	v_add_f64 v[28:29], v[0:1], v[24:25]
	v_add_f64 v[48:49], v[4:5], v[26:27]
	v_add_f64 v[0:1], v[0:1], -v[24:25]
	v_add_f64 v[4:5], v[4:5], -v[26:27]
	v_add_f64 v[24:25], v[6:7], v[20:21]
	v_add_f64 v[26:27], v[10:11], v[22:23]
	v_add_f64 v[6:7], v[6:7], -v[20:21]
	v_add_f64 v[10:11], v[10:11], -v[22:23]
	;; [unrolled: 4-line block ×4, first 2 shown]
	v_add_f64 v[28:29], v[28:29], -v[20:21]
	v_add_f64 v[48:49], v[48:49], -v[22:23]
	;; [unrolled: 1-line block ×4, first 2 shown]
	v_add_f64 v[68:69], v[12:13], v[6:7]
	v_add_f64 v[70:71], v[14:15], v[10:11]
	v_add_f64 v[72:73], v[12:13], -v[6:7]
	v_add_f64 v[74:75], v[14:15], -v[10:11]
	v_add_f64 v[16:17], v[20:21], v[16:17]
	v_add_f64 v[18:19], v[22:23], v[18:19]
	v_add_f64 v[20:21], v[6:7], -v[0:1]
	v_add_f64 v[10:11], v[10:11], -v[4:5]
	;; [unrolled: 1-line block ×4, first 2 shown]
	v_add_f64 v[0:1], v[68:69], v[0:1]
	v_add_f64 v[22:23], v[70:71], v[4:5]
	;; [unrolled: 1-line block ×4, first 2 shown]
	v_mul_f64 v[28:29], v[28:29], s[6:7]
	v_mul_f64 v[48:49], v[48:49], s[6:7]
	;; [unrolled: 1-line block ×8, first 2 shown]
	s_waitcnt vmcnt(0)
	v_mul_f64 v[136:137], v[116:117], v[52:53]
	v_mul_f64 v[52:53], v[114:115], v[52:53]
	v_fma_f64 v[16:17], v[16:17], s[16:17], v[4:5]
	v_fma_f64 v[18:19], v[18:19], s[16:17], v[6:7]
	;; [unrolled: 1-line block ×4, first 2 shown]
	v_fma_f64 v[54:55], v[64:65], s[18:19], -v[54:55]
	v_fma_f64 v[56:57], v[66:67], s[18:19], -v[56:57]
	;; [unrolled: 1-line block ×4, first 2 shown]
	v_fma_f64 v[64:65], v[12:13], s[22:23], v[68:69]
	v_fma_f64 v[66:67], v[14:15], s[22:23], v[70:71]
	v_fma_f64 v[20:21], v[20:21], s[8:9], -v[68:69]
	v_fma_f64 v[10:11], v[10:11], s[8:9], -v[70:71]
	;; [unrolled: 1-line block ×4, first 2 shown]
	v_add_f64 v[68:69], v[24:25], v[16:17]
	v_add_f64 v[70:71], v[26:27], v[18:19]
	;; [unrolled: 1-line block ×6, first 2 shown]
	v_fma_f64 v[54:55], v[22:23], s[24:25], v[66:67]
	v_fma_f64 v[56:57], v[0:1], s[24:25], v[64:65]
	;; [unrolled: 1-line block ×6, first 2 shown]
	v_fma_f64 v[72:73], v[114:115], v[50:51], -v[136:137]
	v_fma_f64 v[50:51], v[116:117], v[50:51], v[52:53]
	v_add_f64 v[10:11], v[54:55], v[68:69]
	v_add_f64 v[12:13], v[70:71], -v[56:57]
	v_add_f64 v[14:15], v[64:65], v[28:29]
	v_add_f64 v[16:17], v[48:49], -v[66:67]
	v_add_f64 v[18:19], v[24:25], -v[22:23]
	v_add_f64 v[20:21], v[0:1], v[26:27]
	v_add_f64 v[22:23], v[22:23], v[24:25]
	v_add_f64 v[24:25], v[26:27], -v[0:1]
	v_add_f64 v[26:27], v[28:29], -v[64:65]
	v_add_f64 v[28:29], v[66:67], v[48:49]
	v_add_f64 v[0:1], v[62:63], v[72:73]
	;; [unrolled: 1-line block ×3, first 2 shown]
	v_add_f64 v[52:53], v[62:63], -v[72:73]
	v_add_f64 v[30:31], v[30:31], -v[50:51]
	v_add_f64 v[50:51], v[32:33], v[44:45]
	v_add_f64 v[62:63], v[34:35], v[46:47]
	v_add_f64 v[32:33], v[32:33], -v[44:45]
	v_add_f64 v[34:35], v[34:35], -v[46:47]
	v_add_f64 v[44:45], v[36:37], v[40:41]
	v_add_f64 v[46:47], v[38:39], v[42:43]
	;; [unrolled: 4-line block ×3, first 2 shown]
	v_add_f64 v[64:65], v[50:51], -v[0:1]
	v_add_f64 v[66:67], v[62:63], -v[48:49]
	;; [unrolled: 1-line block ×6, first 2 shown]
	v_add_f64 v[72:73], v[36:37], v[32:33]
	v_add_f64 v[74:75], v[38:39], v[34:35]
	v_add_f64 v[76:77], v[36:37], -v[32:33]
	v_add_f64 v[78:79], v[38:39], -v[34:35]
	v_add_f64 v[40:41], v[44:45], v[40:41]
	v_add_f64 v[42:43], v[46:47], v[42:43]
	v_add_f64 v[44:45], v[32:33], -v[52:53]
	v_add_f64 v[34:35], v[34:35], -v[30:31]
	;; [unrolled: 1-line block ×4, first 2 shown]
	v_add_f64 v[46:47], v[72:73], v[52:53]
	v_add_f64 v[52:53], v[74:75], v[30:31]
	;; [unrolled: 1-line block ×4, first 2 shown]
	v_mul_f64 v[0:1], v[0:1], s[6:7]
	v_mul_f64 v[48:49], v[48:49], s[6:7]
	;; [unrolled: 1-line block ×8, first 2 shown]
	v_fma_f64 v[40:41], v[40:41], s[16:17], v[30:31]
	v_fma_f64 v[42:43], v[42:43], s[16:17], v[32:33]
	;; [unrolled: 1-line block ×4, first 2 shown]
	v_fma_f64 v[58:59], v[64:65], s[18:19], -v[58:59]
	v_fma_f64 v[60:61], v[66:67], s[18:19], -v[60:61]
	;; [unrolled: 1-line block ×4, first 2 shown]
	v_fma_f64 v[64:65], v[36:37], s[22:23], v[72:73]
	v_fma_f64 v[66:67], v[38:39], s[22:23], v[74:75]
	v_fma_f64 v[44:45], v[44:45], s[8:9], -v[72:73]
	v_fma_f64 v[34:35], v[34:35], s[8:9], -v[74:75]
	;; [unrolled: 1-line block ×4, first 2 shown]
	v_add_f64 v[72:73], v[50:51], v[40:41]
	v_add_f64 v[62:63], v[62:63], v[42:43]
	v_add_f64 v[50:51], v[58:59], v[40:41]
	v_add_f64 v[58:59], v[60:61], v[42:43]
	v_add_f64 v[0:1], v[0:1], v[40:41]
	v_add_f64 v[60:61], v[48:49], v[42:43]
	v_fma_f64 v[66:67], v[52:53], s[24:25], v[66:67]
	v_fma_f64 v[64:65], v[46:47], s[24:25], v[64:65]
	;; [unrolled: 1-line block ×6, first 2 shown]
	v_add_f64 v[34:35], v[68:69], -v[54:55]
	v_add_f64 v[36:37], v[56:57], v[70:71]
	v_add_f64 v[38:39], v[66:67], v[72:73]
	v_add_f64 v[40:41], v[62:63], -v[64:65]
	v_add_f64 v[42:43], v[74:75], v[0:1]
	v_add_f64 v[44:45], v[60:61], -v[76:77]
	v_add_f64 v[46:47], v[50:51], -v[52:53]
	v_add_f64 v[48:49], v[78:79], v[58:59]
	v_add_f64 v[50:51], v[52:53], v[50:51]
	v_add_f64 v[52:53], v[58:59], -v[78:79]
	v_add_f64 v[54:55], v[0:1], -v[74:75]
	v_add_f64 v[56:57], v[76:77], v[60:61]
	v_add_f64 v[58:59], v[72:73], -v[66:67]
	v_add_f64 v[60:61], v[64:65], v[62:63]
	ds_write_b128 v151, v[4:7]
	ds_write_b128 v151, v[10:13] offset:416
	ds_write_b128 v151, v[14:17] offset:832
	;; [unrolled: 1-line block ×13, first 2 shown]
	s_waitcnt lgkmcnt(0)
	; wave barrier
	s_waitcnt lgkmcnt(0)
	ds_read_b128 v[4:7], v149
	v_sub_u32_e32 v14, v148, v150
                                        ; implicit-def: $vgpr0_vgpr1
                                        ; implicit-def: $vgpr10_vgpr11
                                        ; implicit-def: $vgpr12_vgpr13
	s_and_saveexec_b64 s[2:3], s[0:1]
	s_xor_b64 s[0:1], exec, s[2:3]
	s_cbranch_execz .LBB0_17
; %bb.16:
	global_load_dwordx4 v[15:18], v[2:3], off offset:2704
	ds_read_b128 v[0:3], v14 offset:2912
	s_waitcnt lgkmcnt(0)
	v_add_f64 v[10:11], v[4:5], -v[0:1]
	v_add_f64 v[12:13], v[6:7], v[2:3]
	v_add_f64 v[2:3], v[6:7], -v[2:3]
	v_add_f64 v[0:1], v[4:5], v[0:1]
	v_mul_f64 v[6:7], v[10:11], 0.5
	v_mul_f64 v[4:5], v[12:13], 0.5
	;; [unrolled: 1-line block ×3, first 2 shown]
	s_waitcnt vmcnt(0)
	v_mul_f64 v[10:11], v[6:7], v[17:18]
	v_fma_f64 v[12:13], v[4:5], v[17:18], v[2:3]
	v_fma_f64 v[2:3], v[4:5], v[17:18], -v[2:3]
	v_fma_f64 v[19:20], v[0:1], 0.5, v[10:11]
	v_fma_f64 v[0:1], v[0:1], 0.5, -v[10:11]
	v_fma_f64 v[12:13], -v[15:16], v[6:7], v[12:13]
	v_fma_f64 v[2:3], -v[15:16], v[6:7], v[2:3]
	v_fma_f64 v[10:11], v[4:5], v[15:16], v[19:20]
	v_fma_f64 v[0:1], -v[4:5], v[15:16], v[0:1]
                                        ; implicit-def: $vgpr4_vgpr5
.LBB0_17:
	s_andn2_saveexec_b64 s[0:1], s[0:1]
	s_cbranch_execz .LBB0_19
; %bb.18:
	s_waitcnt lgkmcnt(0)
	v_add_f64 v[10:11], v[4:5], v[6:7]
	ds_read_b64 v[2:3], v148 offset:1464
	v_add_f64 v[0:1], v[4:5], -v[6:7]
	v_mov_b32_e32 v12, 0
	v_mov_b32_e32 v13, 0
	s_waitcnt lgkmcnt(0)
	v_xor_b32_e32 v3, 0x80000000, v3
	ds_write_b64 v148, v[2:3] offset:1464
	v_mov_b32_e32 v2, v12
	v_mov_b32_e32 v3, v13
.LBB0_19:
	s_or_b64 exec, exec, s[0:1]
	s_add_u32 s0, s12, 0xa90
	s_addc_u32 s1, s13, 0
	s_waitcnt lgkmcnt(0)
	v_mov_b32_e32 v4, s1
	v_add_co_u32_e64 v19, s[0:1], s0, v8
	v_addc_co_u32_e64 v20, s[0:1], v4, v9, s[0:1]
	global_load_dwordx4 v[4:7], v[19:20], off offset:208
	global_load_dwordx4 v[15:18], v[19:20], off offset:416
	ds_write2_b64 v149, v[10:11], v[12:13] offset1:1
	ds_write_b128 v14, v[0:3] offset:2912
	ds_read_b128 v[0:3], v149 offset:208
	ds_read_b128 v[8:11], v14 offset:2704
	s_waitcnt lgkmcnt(0)
	v_add_f64 v[12:13], v[0:1], -v[8:9]
	v_add_f64 v[21:22], v[2:3], v[10:11]
	v_add_f64 v[2:3], v[2:3], -v[10:11]
	v_add_f64 v[0:1], v[0:1], v[8:9]
	v_mul_f64 v[10:11], v[12:13], 0.5
	v_mul_f64 v[12:13], v[21:22], 0.5
	v_mul_f64 v[2:3], v[2:3], 0.5
	s_waitcnt vmcnt(1)
	v_mul_f64 v[8:9], v[10:11], v[6:7]
	v_fma_f64 v[21:22], v[12:13], v[6:7], v[2:3]
	v_fma_f64 v[6:7], v[12:13], v[6:7], -v[2:3]
	v_fma_f64 v[23:24], v[0:1], 0.5, v[8:9]
	v_fma_f64 v[8:9], v[0:1], 0.5, -v[8:9]
	global_load_dwordx4 v[0:3], v[19:20], off offset:624
	v_fma_f64 v[21:22], -v[4:5], v[10:11], v[21:22]
	v_fma_f64 v[6:7], -v[4:5], v[10:11], v[6:7]
	v_fma_f64 v[10:11], v[12:13], v[4:5], v[23:24]
	v_fma_f64 v[4:5], -v[12:13], v[4:5], v[8:9]
	ds_write2_b64 v149, v[10:11], v[21:22] offset0:26 offset1:27
	ds_write_b128 v14, v[4:7] offset:2704
	ds_read_b128 v[4:7], v149 offset:416
	ds_read_b128 v[8:11], v14 offset:2496
	s_waitcnt lgkmcnt(0)
	v_add_f64 v[12:13], v[4:5], -v[8:9]
	v_add_f64 v[21:22], v[6:7], v[10:11]
	v_add_f64 v[6:7], v[6:7], -v[10:11]
	v_add_f64 v[4:5], v[4:5], v[8:9]
	v_mul_f64 v[10:11], v[12:13], 0.5
	v_mul_f64 v[12:13], v[21:22], 0.5
	v_mul_f64 v[6:7], v[6:7], 0.5
	s_waitcnt vmcnt(1)
	v_mul_f64 v[8:9], v[10:11], v[17:18]
	v_fma_f64 v[21:22], v[12:13], v[17:18], v[6:7]
	v_fma_f64 v[17:18], v[12:13], v[17:18], -v[6:7]
	v_fma_f64 v[23:24], v[4:5], 0.5, v[8:9]
	v_fma_f64 v[8:9], v[4:5], 0.5, -v[8:9]
	global_load_dwordx4 v[4:7], v[19:20], off offset:832
	v_fma_f64 v[21:22], -v[15:16], v[10:11], v[21:22]
	v_fma_f64 v[10:11], -v[15:16], v[10:11], v[17:18]
	v_fma_f64 v[17:18], v[12:13], v[15:16], v[23:24]
	v_fma_f64 v[8:9], -v[12:13], v[15:16], v[8:9]
	ds_write2_b64 v149, v[17:18], v[21:22] offset0:52 offset1:53
	;; [unrolled: 23-line block ×4, first 2 shown]
	ds_write_b128 v14, v[4:7] offset:2080
	ds_read_b128 v[4:7], v149 offset:1040
	ds_read_b128 v[15:18], v14 offset:1872
	s_waitcnt lgkmcnt(0)
	v_add_f64 v[12:13], v[4:5], -v[15:16]
	v_add_f64 v[19:20], v[6:7], v[17:18]
	v_add_f64 v[6:7], v[6:7], -v[17:18]
	v_add_f64 v[4:5], v[4:5], v[15:16]
	v_mul_f64 v[12:13], v[12:13], 0.5
	v_mul_f64 v[17:18], v[19:20], 0.5
	;; [unrolled: 1-line block ×3, first 2 shown]
	s_waitcnt vmcnt(1)
	v_mul_f64 v[15:16], v[12:13], v[10:11]
	v_fma_f64 v[19:20], v[17:18], v[10:11], v[6:7]
	v_fma_f64 v[6:7], v[17:18], v[10:11], -v[6:7]
	v_fma_f64 v[10:11], v[4:5], 0.5, v[15:16]
	v_fma_f64 v[4:5], v[4:5], 0.5, -v[15:16]
	v_fma_f64 v[15:16], -v[8:9], v[12:13], v[19:20]
	v_fma_f64 v[6:7], -v[8:9], v[12:13], v[6:7]
	v_fma_f64 v[10:11], v[17:18], v[8:9], v[10:11]
	v_fma_f64 v[4:5], -v[17:18], v[8:9], v[4:5]
	ds_write2_b64 v149, v[10:11], v[15:16] offset0:130 offset1:131
	ds_write_b128 v14, v[4:7] offset:1872
	ds_read_b128 v[4:7], v149 offset:1248
	ds_read_b128 v[8:11], v14 offset:1664
	s_waitcnt lgkmcnt(0)
	v_add_f64 v[12:13], v[4:5], -v[8:9]
	v_add_f64 v[15:16], v[6:7], v[10:11]
	v_add_f64 v[6:7], v[6:7], -v[10:11]
	v_add_f64 v[4:5], v[4:5], v[8:9]
	v_mul_f64 v[10:11], v[12:13], 0.5
	v_mul_f64 v[12:13], v[15:16], 0.5
	;; [unrolled: 1-line block ×3, first 2 shown]
	s_waitcnt vmcnt(0)
	v_mul_f64 v[8:9], v[10:11], v[2:3]
	v_fma_f64 v[15:16], v[12:13], v[2:3], v[6:7]
	v_fma_f64 v[2:3], v[12:13], v[2:3], -v[6:7]
	v_fma_f64 v[6:7], v[4:5], 0.5, v[8:9]
	v_fma_f64 v[4:5], v[4:5], 0.5, -v[8:9]
	v_fma_f64 v[8:9], -v[0:1], v[10:11], v[15:16]
	v_fma_f64 v[2:3], -v[0:1], v[10:11], v[2:3]
	v_fma_f64 v[6:7], v[12:13], v[0:1], v[6:7]
	v_fma_f64 v[0:1], -v[12:13], v[0:1], v[4:5]
	ds_write2_b64 v149, v[6:7], v[8:9] offset0:156 offset1:157
	ds_write_b128 v14, v[0:3] offset:1664
	s_waitcnt lgkmcnt(0)
	; wave barrier
	s_waitcnt lgkmcnt(0)
	s_and_saveexec_b64 s[0:1], vcc
	s_cbranch_execz .LBB0_22
; %bb.20:
	v_mul_lo_u32 v2, s5, v88
	v_mul_lo_u32 v3, s4, v89
	v_mad_u64_u32 v[0:1], s[0:1], s4, v88, 0
	v_mov_b32_e32 v7, s11
	v_mov_b32_e32 v87, 0
	v_add3_u32 v1, v1, v3, v2
	v_lshlrev_b64 v[0:1], 4, v[0:1]
	v_lshl_add_u32 v2, v86, 4, v148
	v_add_co_u32_e32 v8, vcc, s10, v0
	v_addc_co_u32_e32 v7, vcc, v7, v1, vcc
	v_lshlrev_b64 v[0:1], 4, v[84:85]
	ds_read_b128 v[3:6], v2
	v_add_co_u32_e32 v0, vcc, v8, v0
	v_addc_co_u32_e32 v1, vcc, v7, v1, vcc
	v_lshlrev_b64 v[7:8], 4, v[86:87]
	v_add_co_u32_e32 v11, vcc, v0, v7
	v_addc_co_u32_e32 v12, vcc, v1, v8, vcc
	ds_read_b128 v[7:10], v2 offset:208
	s_waitcnt lgkmcnt(1)
	global_store_dwordx4 v[11:12], v[3:6], off
	s_nop 0
	v_add_u32_e32 v3, 13, v86
	v_mov_b32_e32 v4, v87
	v_lshlrev_b64 v[3:4], 4, v[3:4]
	v_add_co_u32_e32 v3, vcc, v0, v3
	v_addc_co_u32_e32 v4, vcc, v1, v4, vcc
	s_waitcnt lgkmcnt(0)
	global_store_dwordx4 v[3:4], v[7:10], off
	ds_read_b128 v[3:6], v2 offset:416
	v_add_u32_e32 v7, 26, v86
	v_mov_b32_e32 v8, v87
	v_lshlrev_b64 v[7:8], 4, v[7:8]
	v_add_co_u32_e32 v11, vcc, v0, v7
	v_addc_co_u32_e32 v12, vcc, v1, v8, vcc
	ds_read_b128 v[7:10], v2 offset:624
	s_waitcnt lgkmcnt(1)
	global_store_dwordx4 v[11:12], v[3:6], off
	s_nop 0
	v_add_u32_e32 v3, 39, v86
	v_mov_b32_e32 v4, v87
	v_lshlrev_b64 v[3:4], 4, v[3:4]
	v_add_co_u32_e32 v3, vcc, v0, v3
	v_addc_co_u32_e32 v4, vcc, v1, v4, vcc
	s_waitcnt lgkmcnt(0)
	global_store_dwordx4 v[3:4], v[7:10], off
	ds_read_b128 v[3:6], v2 offset:832
	v_add_u32_e32 v7, 52, v86
	v_mov_b32_e32 v8, v87
	;; [unrolled: 17-line block ×6, first 2 shown]
	v_lshlrev_b64 v[7:8], 4, v[7:8]
	v_add_co_u32_e32 v11, vcc, v0, v7
	v_addc_co_u32_e32 v12, vcc, v1, v8, vcc
	ds_read_b128 v[7:10], v2 offset:2704
	s_waitcnt lgkmcnt(1)
	global_store_dwordx4 v[11:12], v[3:6], off
	s_nop 0
	v_add_u32_e32 v3, 0xa9, v86
	v_mov_b32_e32 v4, v87
	v_lshlrev_b64 v[3:4], 4, v[3:4]
	v_add_co_u32_e32 v3, vcc, v0, v3
	v_addc_co_u32_e32 v4, vcc, v1, v4, vcc
	v_cmp_eq_u32_e32 vcc, 12, v86
	s_waitcnt lgkmcnt(0)
	global_store_dwordx4 v[3:4], v[7:10], off
	s_and_b64 exec, exec, vcc
	s_cbranch_execz .LBB0_22
; %bb.21:
	ds_read_b128 v[2:5], v2 offset:2720
	s_waitcnt lgkmcnt(0)
	global_store_dwordx4 v[0:1], v[2:5], off offset:2912
.LBB0_22:
	s_endpgm
	.section	.rodata,"a",@progbits
	.p2align	6, 0x0
	.amdhsa_kernel fft_rtc_fwd_len182_factors_13_2_7_wgs_52_tpt_13_dp_op_CI_CI_unitstride_sbrr_R2C_dirReg
		.amdhsa_group_segment_fixed_size 0
		.amdhsa_private_segment_fixed_size 0
		.amdhsa_kernarg_size 104
		.amdhsa_user_sgpr_count 6
		.amdhsa_user_sgpr_private_segment_buffer 1
		.amdhsa_user_sgpr_dispatch_ptr 0
		.amdhsa_user_sgpr_queue_ptr 0
		.amdhsa_user_sgpr_kernarg_segment_ptr 1
		.amdhsa_user_sgpr_dispatch_id 0
		.amdhsa_user_sgpr_flat_scratch_init 0
		.amdhsa_user_sgpr_private_segment_size 0
		.amdhsa_uses_dynamic_stack 0
		.amdhsa_system_sgpr_private_segment_wavefront_offset 0
		.amdhsa_system_sgpr_workgroup_id_x 1
		.amdhsa_system_sgpr_workgroup_id_y 0
		.amdhsa_system_sgpr_workgroup_id_z 0
		.amdhsa_system_sgpr_workgroup_info 0
		.amdhsa_system_vgpr_workitem_id 0
		.amdhsa_next_free_vgpr 193
		.amdhsa_next_free_sgpr 50
		.amdhsa_reserve_vcc 1
		.amdhsa_reserve_flat_scratch 0
		.amdhsa_float_round_mode_32 0
		.amdhsa_float_round_mode_16_64 0
		.amdhsa_float_denorm_mode_32 3
		.amdhsa_float_denorm_mode_16_64 3
		.amdhsa_dx10_clamp 1
		.amdhsa_ieee_mode 1
		.amdhsa_fp16_overflow 0
		.amdhsa_exception_fp_ieee_invalid_op 0
		.amdhsa_exception_fp_denorm_src 0
		.amdhsa_exception_fp_ieee_div_zero 0
		.amdhsa_exception_fp_ieee_overflow 0
		.amdhsa_exception_fp_ieee_underflow 0
		.amdhsa_exception_fp_ieee_inexact 0
		.amdhsa_exception_int_div_zero 0
	.end_amdhsa_kernel
	.text
.Lfunc_end0:
	.size	fft_rtc_fwd_len182_factors_13_2_7_wgs_52_tpt_13_dp_op_CI_CI_unitstride_sbrr_R2C_dirReg, .Lfunc_end0-fft_rtc_fwd_len182_factors_13_2_7_wgs_52_tpt_13_dp_op_CI_CI_unitstride_sbrr_R2C_dirReg
                                        ; -- End function
	.section	.AMDGPU.csdata,"",@progbits
; Kernel info:
; codeLenInByte = 14344
; NumSgprs: 54
; NumVgprs: 193
; ScratchSize: 0
; MemoryBound: 0
; FloatMode: 240
; IeeeMode: 1
; LDSByteSize: 0 bytes/workgroup (compile time only)
; SGPRBlocks: 6
; VGPRBlocks: 48
; NumSGPRsForWavesPerEU: 54
; NumVGPRsForWavesPerEU: 193
; Occupancy: 1
; WaveLimiterHint : 1
; COMPUTE_PGM_RSRC2:SCRATCH_EN: 0
; COMPUTE_PGM_RSRC2:USER_SGPR: 6
; COMPUTE_PGM_RSRC2:TRAP_HANDLER: 0
; COMPUTE_PGM_RSRC2:TGID_X_EN: 1
; COMPUTE_PGM_RSRC2:TGID_Y_EN: 0
; COMPUTE_PGM_RSRC2:TGID_Z_EN: 0
; COMPUTE_PGM_RSRC2:TIDIG_COMP_CNT: 0
	.type	__hip_cuid_2461c832efe9b2fa,@object ; @__hip_cuid_2461c832efe9b2fa
	.section	.bss,"aw",@nobits
	.globl	__hip_cuid_2461c832efe9b2fa
__hip_cuid_2461c832efe9b2fa:
	.byte	0                               ; 0x0
	.size	__hip_cuid_2461c832efe9b2fa, 1

	.ident	"AMD clang version 19.0.0git (https://github.com/RadeonOpenCompute/llvm-project roc-6.4.0 25133 c7fe45cf4b819c5991fe208aaa96edf142730f1d)"
	.section	".note.GNU-stack","",@progbits
	.addrsig
	.addrsig_sym __hip_cuid_2461c832efe9b2fa
	.amdgpu_metadata
---
amdhsa.kernels:
  - .args:
      - .actual_access:  read_only
        .address_space:  global
        .offset:         0
        .size:           8
        .value_kind:     global_buffer
      - .offset:         8
        .size:           8
        .value_kind:     by_value
      - .actual_access:  read_only
        .address_space:  global
        .offset:         16
        .size:           8
        .value_kind:     global_buffer
      - .actual_access:  read_only
        .address_space:  global
        .offset:         24
        .size:           8
        .value_kind:     global_buffer
      - .actual_access:  read_only
        .address_space:  global
        .offset:         32
        .size:           8
        .value_kind:     global_buffer
      - .offset:         40
        .size:           8
        .value_kind:     by_value
      - .actual_access:  read_only
        .address_space:  global
        .offset:         48
        .size:           8
        .value_kind:     global_buffer
      - .actual_access:  read_only
        .address_space:  global
        .offset:         56
        .size:           8
        .value_kind:     global_buffer
      - .offset:         64
        .size:           4
        .value_kind:     by_value
      - .actual_access:  read_only
        .address_space:  global
        .offset:         72
        .size:           8
        .value_kind:     global_buffer
      - .actual_access:  read_only
        .address_space:  global
        .offset:         80
        .size:           8
        .value_kind:     global_buffer
      - .actual_access:  read_only
        .address_space:  global
        .offset:         88
        .size:           8
        .value_kind:     global_buffer
      - .actual_access:  write_only
        .address_space:  global
        .offset:         96
        .size:           8
        .value_kind:     global_buffer
    .group_segment_fixed_size: 0
    .kernarg_segment_align: 8
    .kernarg_segment_size: 104
    .language:       OpenCL C
    .language_version:
      - 2
      - 0
    .max_flat_workgroup_size: 52
    .name:           fft_rtc_fwd_len182_factors_13_2_7_wgs_52_tpt_13_dp_op_CI_CI_unitstride_sbrr_R2C_dirReg
    .private_segment_fixed_size: 0
    .sgpr_count:     54
    .sgpr_spill_count: 0
    .symbol:         fft_rtc_fwd_len182_factors_13_2_7_wgs_52_tpt_13_dp_op_CI_CI_unitstride_sbrr_R2C_dirReg.kd
    .uniform_work_group_size: 1
    .uses_dynamic_stack: false
    .vgpr_count:     193
    .vgpr_spill_count: 0
    .wavefront_size: 64
amdhsa.target:   amdgcn-amd-amdhsa--gfx906
amdhsa.version:
  - 1
  - 2
...

	.end_amdgpu_metadata
